;; amdgpu-corpus repo=ROCm/rocFFT kind=compiled arch=gfx906 opt=O3
	.text
	.amdgcn_target "amdgcn-amd-amdhsa--gfx906"
	.amdhsa_code_object_version 6
	.protected	fft_rtc_fwd_len3888_factors_16_3_3_3_3_3_wgs_324_tpt_324_halfLds_half_op_CI_CI_unitstride_sbrr_R2C_dirReg ; -- Begin function fft_rtc_fwd_len3888_factors_16_3_3_3_3_3_wgs_324_tpt_324_halfLds_half_op_CI_CI_unitstride_sbrr_R2C_dirReg
	.globl	fft_rtc_fwd_len3888_factors_16_3_3_3_3_3_wgs_324_tpt_324_halfLds_half_op_CI_CI_unitstride_sbrr_R2C_dirReg
	.p2align	8
	.type	fft_rtc_fwd_len3888_factors_16_3_3_3_3_3_wgs_324_tpt_324_halfLds_half_op_CI_CI_unitstride_sbrr_R2C_dirReg,@function
fft_rtc_fwd_len3888_factors_16_3_3_3_3_3_wgs_324_tpt_324_halfLds_half_op_CI_CI_unitstride_sbrr_R2C_dirReg: ; @fft_rtc_fwd_len3888_factors_16_3_3_3_3_3_wgs_324_tpt_324_halfLds_half_op_CI_CI_unitstride_sbrr_R2C_dirReg
; %bb.0:
	s_load_dwordx4 s[8:11], s[4:5], 0x58
	s_load_dwordx4 s[12:15], s[4:5], 0x0
	;; [unrolled: 1-line block ×3, first 2 shown]
	v_mul_u32_u24_e32 v1, 0x195, v0
	v_lshrrev_b32_e32 v1, 17, v1
	v_mov_b32_e32 v3, 0
	s_waitcnt lgkmcnt(0)
	v_cmp_lt_u64_e64 s[0:1], s[14:15], 2
	v_mov_b32_e32 v7, 0
	v_add_u32_e32 v9, s6, v1
	v_mov_b32_e32 v10, v3
	s_and_b64 vcc, exec, s[0:1]
	v_mov_b32_e32 v8, 0
	s_cbranch_vccnz .LBB0_8
; %bb.1:
	s_load_dwordx2 s[0:1], s[4:5], 0x10
	s_add_u32 s2, s18, 8
	s_addc_u32 s3, s19, 0
	s_add_u32 s6, s16, 8
	s_addc_u32 s7, s17, 0
	v_mov_b32_e32 v7, 0
	s_waitcnt lgkmcnt(0)
	s_add_u32 s20, s0, 8
	v_mov_b32_e32 v8, 0
	v_mov_b32_e32 v1, v7
	s_addc_u32 s21, s1, 0
	s_mov_b64 s[22:23], 1
	v_mov_b32_e32 v2, v8
.LBB0_2:                                ; =>This Inner Loop Header: Depth=1
	s_load_dwordx2 s[24:25], s[20:21], 0x0
                                        ; implicit-def: $vgpr5_vgpr6
	s_waitcnt lgkmcnt(0)
	v_or_b32_e32 v4, s25, v10
	v_cmp_ne_u64_e32 vcc, 0, v[3:4]
	s_and_saveexec_b64 s[0:1], vcc
	s_xor_b64 s[26:27], exec, s[0:1]
	s_cbranch_execz .LBB0_4
; %bb.3:                                ;   in Loop: Header=BB0_2 Depth=1
	v_cvt_f32_u32_e32 v4, s24
	v_cvt_f32_u32_e32 v5, s25
	s_sub_u32 s0, 0, s24
	s_subb_u32 s1, 0, s25
	v_mac_f32_e32 v4, 0x4f800000, v5
	v_rcp_f32_e32 v4, v4
	v_mul_f32_e32 v4, 0x5f7ffffc, v4
	v_mul_f32_e32 v5, 0x2f800000, v4
	v_trunc_f32_e32 v5, v5
	v_mac_f32_e32 v4, 0xcf800000, v5
	v_cvt_u32_f32_e32 v5, v5
	v_cvt_u32_f32_e32 v4, v4
	v_mul_lo_u32 v6, s0, v5
	v_mul_hi_u32 v11, s0, v4
	v_mul_lo_u32 v13, s1, v4
	v_mul_lo_u32 v12, s0, v4
	v_add_u32_e32 v6, v11, v6
	v_add_u32_e32 v6, v6, v13
	v_mul_hi_u32 v11, v4, v12
	v_mul_lo_u32 v13, v4, v6
	v_mul_hi_u32 v15, v4, v6
	v_mul_hi_u32 v14, v5, v12
	v_mul_lo_u32 v12, v5, v12
	v_mul_hi_u32 v16, v5, v6
	v_add_co_u32_e32 v11, vcc, v11, v13
	v_addc_co_u32_e32 v13, vcc, 0, v15, vcc
	v_mul_lo_u32 v6, v5, v6
	v_add_co_u32_e32 v11, vcc, v11, v12
	v_addc_co_u32_e32 v11, vcc, v13, v14, vcc
	v_addc_co_u32_e32 v12, vcc, 0, v16, vcc
	v_add_co_u32_e32 v6, vcc, v11, v6
	v_addc_co_u32_e32 v11, vcc, 0, v12, vcc
	v_add_co_u32_e32 v4, vcc, v4, v6
	v_addc_co_u32_e32 v5, vcc, v5, v11, vcc
	v_mul_lo_u32 v6, s0, v5
	v_mul_hi_u32 v11, s0, v4
	v_mul_lo_u32 v12, s1, v4
	v_mul_lo_u32 v13, s0, v4
	v_add_u32_e32 v6, v11, v6
	v_add_u32_e32 v6, v6, v12
	v_mul_lo_u32 v14, v4, v6
	v_mul_hi_u32 v15, v4, v13
	v_mul_hi_u32 v16, v4, v6
	;; [unrolled: 1-line block ×3, first 2 shown]
	v_mul_lo_u32 v13, v5, v13
	v_mul_hi_u32 v11, v5, v6
	v_add_co_u32_e32 v14, vcc, v15, v14
	v_addc_co_u32_e32 v15, vcc, 0, v16, vcc
	v_mul_lo_u32 v6, v5, v6
	v_add_co_u32_e32 v13, vcc, v14, v13
	v_addc_co_u32_e32 v12, vcc, v15, v12, vcc
	v_addc_co_u32_e32 v11, vcc, 0, v11, vcc
	v_add_co_u32_e32 v6, vcc, v12, v6
	v_addc_co_u32_e32 v11, vcc, 0, v11, vcc
	v_add_co_u32_e32 v6, vcc, v4, v6
	v_addc_co_u32_e32 v11, vcc, v5, v11, vcc
	v_mad_u64_u32 v[4:5], s[0:1], v9, v11, 0
	v_mul_hi_u32 v12, v9, v6
	v_add_co_u32_e32 v13, vcc, v12, v4
	v_addc_co_u32_e32 v14, vcc, 0, v5, vcc
	v_mad_u64_u32 v[4:5], s[0:1], v10, v6, 0
	v_mad_u64_u32 v[11:12], s[0:1], v10, v11, 0
	v_add_co_u32_e32 v4, vcc, v13, v4
	v_addc_co_u32_e32 v4, vcc, v14, v5, vcc
	v_addc_co_u32_e32 v5, vcc, 0, v12, vcc
	v_add_co_u32_e32 v11, vcc, v4, v11
	v_addc_co_u32_e32 v6, vcc, 0, v5, vcc
	v_mul_lo_u32 v12, s25, v11
	v_mul_lo_u32 v13, s24, v6
	v_mad_u64_u32 v[4:5], s[0:1], s24, v11, 0
	v_add3_u32 v5, v5, v13, v12
	v_sub_u32_e32 v12, v10, v5
	v_mov_b32_e32 v13, s25
	v_sub_co_u32_e32 v4, vcc, v9, v4
	v_subb_co_u32_e64 v12, s[0:1], v12, v13, vcc
	v_subrev_co_u32_e64 v13, s[0:1], s24, v4
	v_subbrev_co_u32_e64 v12, s[0:1], 0, v12, s[0:1]
	v_cmp_le_u32_e64 s[0:1], s25, v12
	v_cndmask_b32_e64 v14, 0, -1, s[0:1]
	v_cmp_le_u32_e64 s[0:1], s24, v13
	v_cndmask_b32_e64 v13, 0, -1, s[0:1]
	v_cmp_eq_u32_e64 s[0:1], s25, v12
	v_cndmask_b32_e64 v12, v14, v13, s[0:1]
	v_add_co_u32_e64 v13, s[0:1], 2, v11
	v_addc_co_u32_e64 v14, s[0:1], 0, v6, s[0:1]
	v_add_co_u32_e64 v15, s[0:1], 1, v11
	v_addc_co_u32_e64 v16, s[0:1], 0, v6, s[0:1]
	v_subb_co_u32_e32 v5, vcc, v10, v5, vcc
	v_cmp_ne_u32_e64 s[0:1], 0, v12
	v_cmp_le_u32_e32 vcc, s25, v5
	v_cndmask_b32_e64 v12, v16, v14, s[0:1]
	v_cndmask_b32_e64 v14, 0, -1, vcc
	v_cmp_le_u32_e32 vcc, s24, v4
	v_cndmask_b32_e64 v4, 0, -1, vcc
	v_cmp_eq_u32_e32 vcc, s25, v5
	v_cndmask_b32_e32 v4, v14, v4, vcc
	v_cmp_ne_u32_e32 vcc, 0, v4
	v_cndmask_b32_e64 v4, v15, v13, s[0:1]
	v_cndmask_b32_e32 v6, v6, v12, vcc
	v_cndmask_b32_e32 v5, v11, v4, vcc
.LBB0_4:                                ;   in Loop: Header=BB0_2 Depth=1
	s_andn2_saveexec_b64 s[0:1], s[26:27]
	s_cbranch_execz .LBB0_6
; %bb.5:                                ;   in Loop: Header=BB0_2 Depth=1
	v_cvt_f32_u32_e32 v4, s24
	s_sub_i32 s26, 0, s24
	v_rcp_iflag_f32_e32 v4, v4
	v_mul_f32_e32 v4, 0x4f7ffffe, v4
	v_cvt_u32_f32_e32 v4, v4
	v_mul_lo_u32 v5, s26, v4
	v_mul_hi_u32 v5, v4, v5
	v_add_u32_e32 v4, v4, v5
	v_mul_hi_u32 v4, v9, v4
	v_mul_lo_u32 v5, v4, s24
	v_add_u32_e32 v6, 1, v4
	v_sub_u32_e32 v5, v9, v5
	v_subrev_u32_e32 v11, s24, v5
	v_cmp_le_u32_e32 vcc, s24, v5
	v_cndmask_b32_e32 v5, v5, v11, vcc
	v_cndmask_b32_e32 v4, v4, v6, vcc
	v_add_u32_e32 v6, 1, v4
	v_cmp_le_u32_e32 vcc, s24, v5
	v_cndmask_b32_e32 v5, v4, v6, vcc
	v_mov_b32_e32 v6, v3
.LBB0_6:                                ;   in Loop: Header=BB0_2 Depth=1
	s_or_b64 exec, exec, s[0:1]
	v_mul_lo_u32 v4, v6, s24
	v_mul_lo_u32 v13, v5, s25
	v_mad_u64_u32 v[11:12], s[0:1], v5, s24, 0
	s_load_dwordx2 s[0:1], s[6:7], 0x0
	s_load_dwordx2 s[24:25], s[2:3], 0x0
	v_add3_u32 v4, v12, v13, v4
	v_sub_co_u32_e32 v9, vcc, v9, v11
	v_subb_co_u32_e32 v4, vcc, v10, v4, vcc
	s_waitcnt lgkmcnt(0)
	v_mul_lo_u32 v10, s0, v4
	v_mul_lo_u32 v11, s1, v9
	v_mad_u64_u32 v[7:8], s[0:1], s0, v9, v[7:8]
	s_add_u32 s22, s22, 1
	s_addc_u32 s23, s23, 0
	s_add_u32 s2, s2, 8
	v_mul_lo_u32 v4, s24, v4
	v_mul_lo_u32 v12, s25, v9
	v_mad_u64_u32 v[1:2], s[0:1], s24, v9, v[1:2]
	v_add3_u32 v8, v11, v8, v10
	s_addc_u32 s3, s3, 0
	v_mov_b32_e32 v9, s14
	s_add_u32 s6, s6, 8
	v_mov_b32_e32 v10, s15
	s_addc_u32 s7, s7, 0
	v_cmp_ge_u64_e32 vcc, s[22:23], v[9:10]
	s_add_u32 s20, s20, 8
	v_add3_u32 v2, v12, v2, v4
	s_addc_u32 s21, s21, 0
	s_cbranch_vccnz .LBB0_9
; %bb.7:                                ;   in Loop: Header=BB0_2 Depth=1
	v_mov_b32_e32 v10, v6
	v_mov_b32_e32 v9, v5
	s_branch .LBB0_2
.LBB0_8:
	v_mov_b32_e32 v1, v7
	v_mov_b32_e32 v5, v9
	;; [unrolled: 1-line block ×4, first 2 shown]
.LBB0_9:
	s_load_dwordx2 s[4:5], s[4:5], 0x28
	s_lshl_b64 s[6:7], s[14:15], 3
	s_add_u32 s2, s18, s6
	s_addc_u32 s3, s19, s7
                                        ; implicit-def: $vgpr3
	s_waitcnt lgkmcnt(0)
	v_cmp_gt_u64_e64 s[0:1], s[4:5], v[5:6]
	v_cmp_le_u64_e32 vcc, s[4:5], v[5:6]
	s_and_saveexec_b64 s[4:5], vcc
	s_xor_b64 s[4:5], exec, s[4:5]
; %bb.10:
	v_mul_hi_u32_u24_e32 v3, 0xca4588, v0
	v_mul_u32_u24_e32 v3, 0x144, v3
	v_sub_u32_e32 v3, v0, v3
                                        ; implicit-def: $vgpr0
                                        ; implicit-def: $vgpr7_vgpr8
; %bb.11:
	s_andn2_saveexec_b64 s[4:5], s[4:5]
	s_cbranch_execz .LBB0_13
; %bb.12:
	s_add_u32 s6, s16, s6
	s_addc_u32 s7, s17, s7
	s_load_dwordx2 s[6:7], s[6:7], 0x0
	v_mul_hi_u32_u24_e32 v3, 0xca4588, v0
	v_mul_u32_u24_e32 v3, 0x144, v3
	v_mov_b32_e32 v12, s9
	v_sub_u32_e32 v3, v0, v3
	s_waitcnt lgkmcnt(0)
	v_mul_lo_u32 v4, s7, v5
	v_mul_lo_u32 v11, s6, v6
	v_mad_u64_u32 v[9:10], s[6:7], s6, v5, 0
	v_lshlrev_b64 v[7:8], 2, v[7:8]
	v_lshlrev_b32_e32 v13, 2, v3
	v_add3_u32 v10, v10, v11, v4
	v_lshlrev_b64 v[9:10], 2, v[9:10]
	s_movk_i32 s6, 0x1000
	v_add_co_u32_e32 v0, vcc, s8, v9
	v_addc_co_u32_e32 v4, vcc, v12, v10, vcc
	v_add_co_u32_e32 v0, vcc, v0, v7
	v_addc_co_u32_e32 v4, vcc, v4, v8, vcc
	;; [unrolled: 2-line block ×4, first 2 shown]
	s_movk_i32 s6, 0x2000
	v_add_co_u32_e32 v11, vcc, s6, v7
	v_addc_co_u32_e32 v12, vcc, 0, v8, vcc
	global_load_dword v0, v[7:8], off
	global_load_dword v4, v[7:8], off offset:1296
	global_load_dword v14, v[7:8], off offset:2592
	;; [unrolled: 1-line block ×7, first 2 shown]
	v_add_co_u32_e32 v7, vcc, 0x3000, v7
	v_addc_co_u32_e32 v8, vcc, 0, v8, vcc
	global_load_dword v9, v[11:12], off offset:2176
	global_load_dword v10, v[11:12], off offset:3472
	;; [unrolled: 1-line block ×4, first 2 shown]
	v_add_u32_e32 v7, 0, v13
	s_waitcnt vmcnt(11)
	ds_write_b32 v7, v0
	s_waitcnt vmcnt(10)
	ds_write_b32 v7, v4 offset:1296
	s_waitcnt vmcnt(9)
	ds_write_b32 v7, v14 offset:2592
	;; [unrolled: 2-line block ×11, first 2 shown]
.LBB0_13:
	s_or_b64 exec, exec, s[4:5]
	v_lshl_add_u32 v0, v3, 2, 0
	v_add_u32_e32 v4, 0x780, v0
	s_waitcnt lgkmcnt(0)
	s_barrier
	ds_read2_b32 v[7:8], v4 offset0:6 offset1:249
	v_add_u32_e32 v4, 0xf00, v0
	ds_read2_b32 v[13:14], v4 offset0:12 offset1:255
	v_add_u32_e32 v4, 0x16c0, v0
	;; [unrolled: 2-line block ×6, first 2 shown]
	ds_read2_b32 v[11:12], v0 offset1:243
	ds_read2_b32 v[19:20], v4 offset0:10 offset1:253
	s_movk_i32 s4, 0xf3
	v_cmp_gt_u32_e32 vcc, s4, v3
	s_waitcnt lgkmcnt(0)
	s_barrier
	s_and_saveexec_b64 s[4:5], vcc
	s_cbranch_execz .LBB0_15
; %bb.14:
	v_pk_add_f16 v4, v11, v17 neg_lo:[0,1] neg_hi:[0,1]
	v_pk_add_f16 v17, v13, v21 neg_lo:[0,1] neg_hi:[0,1]
	;; [unrolled: 1-line block ×6, first 2 shown]
	v_sub_f16_sdwa v22, v18, v21 dst_sel:DWORD dst_unused:UNUSED_PAD src0_sel:DWORD src1_sel:WORD_1
	v_sub_f16_sdwa v23, v16, v20 dst_sel:DWORD dst_unused:UNUSED_PAD src0_sel:DWORD src1_sel:WORD_1
	v_lshrrev_b32_e32 v24, 16, v16
	v_lshrrev_b32_e32 v29, 16, v18
	v_pk_add_f16 v15, v7, v15 neg_lo:[0,1] neg_hi:[0,1]
	v_pk_add_f16 v19, v9, v19 neg_lo:[0,1] neg_hi:[0,1]
	s_mov_b32 s7, 0xb9a8
	v_add_f16_e32 v25, v24, v20
	v_fma_f16 v26, v18, 2.0, -v22
	v_fma_f16 v27, v16, 2.0, -v23
	v_add_f16_e32 v30, v29, v21
	v_fma_f16 v24, v24, 2.0, -v25
	v_fma_f16 v28, v27, s7, v26
	v_fma_f16 v29, v29, 2.0, -v30
	v_pk_fma_f16 v12, v12, 2.0, v18 op_sel_hi:[1,0,1] neg_lo:[0,0,1] neg_hi:[0,0,1]
	v_pk_fma_f16 v14, v14, 2.0, v21 op_sel_hi:[1,0,1] neg_lo:[0,0,1] neg_hi:[0,0,1]
	;; [unrolled: 1-line block ×4, first 2 shown]
	v_sub_f16_sdwa v16, v15, v19 dst_sel:DWORD dst_unused:UNUSED_PAD src0_sel:DWORD src1_sel:WORD_1
	v_lshrrev_b32_e32 v18, 16, v15
	v_sub_f16_sdwa v20, v4, v17 dst_sel:DWORD dst_unused:UNUSED_PAD src0_sel:DWORD src1_sel:WORD_1
	v_lshrrev_b32_e32 v21, 16, v4
	s_movk_i32 s6, 0x39a8
	v_fma_f16 v28, v24, s7, v28
	v_fma_f16 v24, v24, s7, v29
	v_pk_fma_f16 v11, v11, 2.0, v4 op_sel_hi:[1,0,1] neg_lo:[0,0,1] neg_hi:[0,0,1]
	v_pk_fma_f16 v13, v13, 2.0, v17 op_sel_hi:[1,0,1] neg_lo:[0,0,1] neg_hi:[0,0,1]
	;; [unrolled: 1-line block ×4, first 2 shown]
	v_add_f16_e32 v19, v18, v19
	v_add_f16_e32 v17, v21, v17
	v_fma_f16 v4, v4, 2.0, -v20
	v_fma_f16 v15, v15, 2.0, -v16
	v_fma_f16 v24, v27, s6, v24
	v_fma_f16 v18, v18, 2.0, -v19
	v_fma_f16 v27, v15, s7, v4
	;; [unrolled: 2-line block ×3, first 2 shown]
	v_fma_f16 v18, v18, s7, v21
	v_fma_f16 v15, v15, s6, v18
	s_mov_b32 s9, 0xbb64
	v_fma_f16 v4, v4, 2.0, -v27
	v_fma_f16 v18, v26, 2.0, -v28
	v_pk_add_f16 v13, v11, v13 neg_lo:[0,1] neg_hi:[0,1]
	v_pk_add_f16 v9, v7, v9 neg_lo:[0,1] neg_hi:[0,1]
	v_pk_add_f16 v14, v12, v14 neg_lo:[0,1] neg_hi:[0,1]
	v_pk_add_f16 v10, v8, v10 neg_lo:[0,1] neg_hi:[0,1]
	s_mov_b32 s8, 0xb61f
	v_fma_f16 v26, v29, 2.0, -v24
	v_fma_f16 v29, v18, s9, v4
	v_fma_f16 v21, v21, 2.0, -v15
	v_pk_fma_f16 v11, v11, 2.0, v13 op_sel_hi:[1,0,1] neg_lo:[0,0,1] neg_hi:[0,0,1]
	v_pk_fma_f16 v7, v7, 2.0, v9 op_sel_hi:[1,0,1] neg_lo:[0,0,1] neg_hi:[0,0,1]
	;; [unrolled: 1-line block ×4, first 2 shown]
	s_movk_i32 s14, 0x361f
	v_fma_f16 v29, v26, s8, v29
	v_fma_f16 v26, v26, s9, v21
	v_pk_add_f16 v7, v11, v7 neg_lo:[0,1] neg_hi:[0,1]
	v_pk_add_f16 v8, v12, v8 neg_lo:[0,1] neg_hi:[0,1]
	v_fma_f16 v18, v18, s14, v26
	v_pk_fma_f16 v11, v11, 2.0, v7 op_sel_hi:[1,0,1] neg_lo:[0,0,1] neg_hi:[0,0,1]
	v_pk_fma_f16 v12, v12, 2.0, v8 op_sel_hi:[1,0,1] neg_lo:[0,0,1] neg_hi:[0,0,1]
	v_fma_f16 v4, v4, 2.0, -v29
	v_fma_f16 v21, v21, 2.0, -v18
	v_pk_add_f16 v12, v11, v12 neg_lo:[0,1] neg_hi:[0,1]
	v_pack_b32_f16 v4, v4, v21
	v_pk_fma_f16 v11, v11, 2.0, v12 op_sel_hi:[1,0,1] neg_lo:[0,0,1] neg_hi:[0,0,1]
	v_mad_u32_u24 v21, v3, 60, v0
	ds_write2_b32 v21, v11, v4 offset1:1
	v_fma_f16 v11, v25, s6, v30
	v_fma_f16 v4, v23, s6, v22
	;; [unrolled: 1-line block ×8, first 2 shown]
	v_fma_f16 v19, v20, 2.0, -v23
	v_fma_f16 v20, v22, 2.0, -v4
	v_fma_f16 v22, v30, 2.0, -v11
	v_fma_f16 v25, v20, s8, v19
	v_fma_f16 v17, v17, 2.0, -v16
	v_fma_f16 v25, v22, s9, v25
	v_fma_f16 v22, v22, s8, v17
	s_movk_i32 s15, 0x3b64
	v_fma_f16 v20, v20, s15, v22
	v_sub_f16_sdwa v22, v14, v10 dst_sel:DWORD dst_unused:UNUSED_PAD src0_sel:DWORD src1_sel:WORD_1
	v_lshrrev_b32_e32 v26, 16, v14
	v_sub_f16_sdwa v30, v13, v9 dst_sel:DWORD dst_unused:UNUSED_PAD src0_sel:DWORD src1_sel:WORD_1
	v_lshrrev_b32_e32 v31, 16, v13
	v_add_f16_e32 v10, v26, v10
	v_add_f16_e32 v9, v31, v9
	v_fma_f16 v13, v13, 2.0, -v30
	v_fma_f16 v14, v14, 2.0, -v22
	;; [unrolled: 1-line block ×3, first 2 shown]
	v_fma_f16 v32, v14, s7, v13
	v_fma_f16 v31, v31, 2.0, -v9
	v_fma_f16 v32, v26, s7, v32
	v_fma_f16 v26, v26, s7, v31
	v_fma_f16 v14, v14, s6, v26
	v_fma_f16 v19, v19, 2.0, -v25
	v_fma_f16 v17, v17, 2.0, -v20
	v_pack_b32_f16 v17, v19, v17
	v_fma_f16 v13, v13, 2.0, -v32
	v_fma_f16 v19, v31, 2.0, -v14
	v_pack_b32_f16 v13, v13, v19
	ds_write2_b32 v21, v13, v17 offset0:2 offset1:3
	v_fma_f16 v13, v28, s14, v27
	v_fma_f16 v13, v24, s9, v13
	;; [unrolled: 1-line block ×3, first 2 shown]
	v_lshrrev_b32_e32 v24, 16, v7
	v_sub_f16_sdwa v19, v7, v8 dst_sel:DWORD dst_unused:UNUSED_PAD src0_sel:DWORD src1_sel:WORD_1
	v_add_f16_e32 v8, v24, v8
	v_fma_f16 v17, v28, s15, v17
	v_fma_f16 v7, v7, 2.0, -v19
	v_fma_f16 v24, v24, 2.0, -v8
	v_pack_b32_f16 v7, v7, v24
	v_fma_f16 v24, v27, 2.0, -v13
	v_fma_f16 v15, v15, 2.0, -v17
	v_pack_b32_f16 v15, v24, v15
	ds_write2_b32 v21, v7, v15 offset0:4 offset1:5
	v_fma_f16 v7, v4, s15, v23
	v_fma_f16 v7, v11, s8, v7
	v_fma_f16 v11, v11, s15, v16
	v_fma_f16 v4, v4, s14, v11
	v_fma_f16 v11, v16, 2.0, -v4
	v_fma_f16 v16, v22, s6, v30
	v_fma_f16 v16, v10, s7, v16
	;; [unrolled: 1-line block ×4, first 2 shown]
	v_fma_f16 v15, v23, 2.0, -v7
	v_fma_f16 v22, v30, 2.0, -v16
	;; [unrolled: 1-line block ×3, first 2 shown]
	v_pack_b32_f16 v11, v15, v11
	v_pack_b32_f16 v9, v22, v9
	ds_write2_b32 v21, v9, v11 offset0:6 offset1:7
	v_pack_b32_f16 v9, v29, v18
	ds_write2_b32 v21, v12, v9 offset0:8 offset1:9
	v_pack_b32_f16 v9, v25, v20
	v_pack_b32_f16 v11, v32, v14
	ds_write2_b32 v21, v11, v9 offset0:10 offset1:11
	v_pack_b32_f16 v8, v19, v8
	v_pack_b32_f16 v9, v13, v17
	v_pack_b32_f16 v4, v7, v4
	v_pack_b32_f16 v7, v16, v10
	ds_write2_b32 v21, v8, v9 offset0:12 offset1:13
	ds_write2_b32 v21, v7, v4 offset0:14 offset1:15
.LBB0_15:
	s_or_b64 exec, exec, s[4:5]
	v_and_b32_e32 v10, 15, v3
	v_add_u32_e32 v12, 0x144, v3
	v_lshlrev_b32_e32 v4, 3, v10
	v_and_b32_e32 v7, 15, v12
	v_add_u32_e32 v11, 0x288, v3
	s_load_dwordx2 s[2:3], s[2:3], 0x0
	s_waitcnt lgkmcnt(0)
	s_barrier
	global_load_dwordx2 v[13:14], v4, s[12:13]
	v_lshlrev_b32_e32 v4, 3, v7
	v_and_b32_e32 v8, 15, v11
	global_load_dwordx2 v[15:16], v4, s[12:13]
	v_lshlrev_b32_e32 v4, 3, v8
	global_load_dwordx2 v[17:18], v4, s[12:13]
	v_add_u32_e32 v4, 0x3cc, v3
	v_and_b32_e32 v9, 15, v4
	v_lshlrev_b32_e32 v19, 3, v9
	global_load_dwordx2 v[19:20], v19, s[12:13]
	ds_read_u16 v21, v0 offset:7778
	ds_read_b32 v22, v0 offset:7776
	ds_read_b32 v23, v0 offset:11664
	;; [unrolled: 1-line block ×6, first 2 shown]
	ds_read_b32 v28, v0
	ds_read_b32 v29, v0 offset:1296
	ds_read_b32 v30, v0 offset:6480
	;; [unrolled: 1-line block ×5, first 2 shown]
	s_waitcnt lgkmcnt(7)
	v_lshrrev_b32_e32 v36, 16, v26
	s_waitcnt lgkmcnt(3)
	v_lshrrev_b32_e32 v37, 16, v30
	s_waitcnt lgkmcnt(2)
	v_lshrrev_b32_e32 v35, 16, v31
	v_lshrrev_b32_e32 v34, 16, v24
	v_lshrrev_b32_e32 v39, 16, v27
	;; [unrolled: 1-line block ×4, first 2 shown]
	s_movk_i32 s4, 0x3aee
	s_mov_b32 s5, 0xbaee
	v_lshrrev_b32_e32 v40, 16, v25
	s_waitcnt vmcnt(0) lgkmcnt(0)
	s_barrier
	s_mov_b32 s6, 0xaaab
	s_add_u32 s7, s12, 0x3c80
	s_addc_u32 s8, s13, 0
	v_mul_f16_sdwa v42, v13, v35 dst_sel:DWORD dst_unused:UNUSED_PAD src0_sel:WORD_1 src1_sel:DWORD
	v_mul_f16_sdwa v43, v13, v31 dst_sel:DWORD dst_unused:UNUSED_PAD src0_sel:WORD_1 src1_sel:DWORD
	;; [unrolled: 1-line block ×4, first 2 shown]
	v_fma_f16 v31, v13, v31, -v42
	v_fma_f16 v13, v13, v35, v43
	v_fma_f16 v26, v14, v26, -v44
	v_fma_f16 v14, v14, v36, v45
	v_mul_f16_sdwa v35, v15, v37 dst_sel:DWORD dst_unused:UNUSED_PAD src0_sel:WORD_1 src1_sel:DWORD
	v_mul_f16_sdwa v36, v15, v30 dst_sel:DWORD dst_unused:UNUSED_PAD src0_sel:WORD_1 src1_sel:DWORD
	v_mul_f16_sdwa v44, v21, v17 dst_sel:DWORD dst_unused:UNUSED_PAD src0_sel:DWORD src1_sel:WORD_1
	v_mul_f16_sdwa v45, v17, v22 dst_sel:DWORD dst_unused:UNUSED_PAD src0_sel:WORD_1 src1_sel:DWORD
	v_mul_f16_sdwa v46, v34, v18 dst_sel:DWORD dst_unused:UNUSED_PAD src0_sel:DWORD src1_sel:WORD_1
	v_fma_f16 v30, v15, v30, -v35
	v_mul_f16_sdwa v35, v24, v18 dst_sel:DWORD dst_unused:UNUSED_PAD src0_sel:DWORD src1_sel:WORD_1
	v_fma_f16 v15, v15, v37, v36
	v_mul_f16_sdwa v36, v39, v19 dst_sel:DWORD dst_unused:UNUSED_PAD src0_sel:DWORD src1_sel:WORD_1
	v_mul_f16_sdwa v42, v16, v38 dst_sel:DWORD dst_unused:UNUSED_PAD src0_sel:WORD_1 src1_sel:DWORD
	v_fma_f16 v22, v17, v22, -v44
	v_fma_f16 v17, v21, v17, v45
	v_fma_f16 v21, v24, v18, -v46
	v_fma_f16 v18, v34, v18, v35
	v_fma_f16 v24, v27, v19, -v36
	v_sub_f16_e32 v35, v13, v14
	v_add_f16_e32 v36, v41, v13
	v_add_f16_e32 v13, v13, v14
	v_mul_f16_sdwa v43, v16, v23 dst_sel:DWORD dst_unused:UNUSED_PAD src0_sel:WORD_1 src1_sel:DWORD
	v_fma_f16 v23, v16, v23, -v42
	v_mul_f16_sdwa v37, v27, v19 dst_sel:DWORD dst_unused:UNUSED_PAD src0_sel:DWORD src1_sel:WORD_1
	v_add_f16_e32 v27, v28, v31
	v_add_f16_e32 v34, v31, v26
	v_sub_f16_e32 v31, v31, v26
	v_fma_f16 v13, v13, -0.5, v41
	v_fma_f16 v16, v16, v38, v43
	v_add_f16_e32 v26, v27, v26
	v_fma_f16 v27, v34, -0.5, v28
	v_fma_f16 v34, v31, s5, v13
	v_fma_f16 v13, v31, s4, v13
	v_add_f16_e32 v31, v30, v23
	v_fma_f16 v28, v35, s4, v27
	v_fma_f16 v27, v35, s5, v27
	v_fma_f16 v31, v31, -0.5, v29
	v_sub_f16_e32 v35, v15, v16
	v_add_f16_e32 v14, v36, v14
	v_fma_f16 v36, v35, s4, v31
	v_fma_f16 v31, v35, s5, v31
	v_lshrrev_b32_e32 v35, 16, v29
	v_fma_f16 v19, v39, v19, v37
	v_add_f16_e32 v37, v35, v15
	v_add_f16_e32 v37, v37, v16
	;; [unrolled: 1-line block ×4, first 2 shown]
	v_fma_f16 v15, v15, -0.5, v35
	v_add_f16_e32 v16, v16, v23
	v_sub_f16_e32 v23, v30, v23
	v_fma_f16 v29, v23, s5, v15
	v_fma_f16 v15, v23, s4, v15
	v_add_f16_e32 v23, v22, v21
	v_fma_f16 v23, v23, -0.5, v33
	v_sub_f16_e32 v30, v17, v18
	v_mul_f16_sdwa v38, v40, v20 dst_sel:DWORD dst_unused:UNUSED_PAD src0_sel:DWORD src1_sel:WORD_1
	v_fma_f16 v35, v30, s4, v23
	v_fma_f16 v23, v30, s5, v23
	v_lshrrev_b32_e32 v30, 16, v33
	v_mul_f16_sdwa v42, v25, v20 dst_sel:DWORD dst_unused:UNUSED_PAD src0_sel:DWORD src1_sel:WORD_1
	v_fma_f16 v25, v25, v20, -v38
	v_add_f16_e32 v38, v30, v17
	v_add_f16_e32 v38, v38, v18
	;; [unrolled: 1-line block ×4, first 2 shown]
	v_fma_f16 v17, v17, -0.5, v30
	v_add_f16_e32 v18, v18, v21
	v_sub_f16_e32 v21, v22, v21
	v_fma_f16 v20, v40, v20, v42
	v_fma_f16 v22, v21, s5, v17
	;; [unrolled: 1-line block ×3, first 2 shown]
	v_add_f16_e32 v21, v24, v25
	v_fma_f16 v21, v21, -0.5, v32
	v_sub_f16_e32 v30, v19, v20
	v_fma_f16 v33, v30, s4, v21
	v_fma_f16 v21, v30, s5, v21
	v_lshrrev_b32_e32 v30, 16, v32
	v_add_f16_e32 v39, v30, v19
	v_add_f16_e32 v19, v19, v20
	;; [unrolled: 1-line block ×3, first 2 shown]
	v_fma_f16 v19, v19, -0.5, v30
	v_add_f16_e32 v20, v32, v24
	v_sub_f16_e32 v24, v24, v25
	v_add_f16_e32 v20, v20, v25
	v_fma_f16 v25, v24, s5, v19
	v_fma_f16 v19, v24, s4, v19
	v_lshrrev_b32_e32 v24, 4, v3
	v_mul_u32_u24_e32 v24, 48, v24
	v_or_b32_e32 v10, v24, v10
	v_pack_b32_f16 v14, v26, v14
	v_pack_b32_f16 v24, v28, v34
	v_lshl_add_u32 v10, v10, 2, 0
	v_pack_b32_f16 v13, v27, v13
	ds_write2_b32 v10, v14, v24 offset1:16
	ds_write_b32 v10, v13 offset:128
	v_lshrrev_b32_e32 v10, 4, v12
	v_mul_u32_u24_e32 v10, 48, v10
	v_or_b32_e32 v7, v10, v7
	v_lshl_add_u32 v7, v7, 2, 0
	v_pack_b32_f16 v10, v16, v37
	v_pack_b32_f16 v13, v36, v29
	ds_write2_b32 v7, v10, v13 offset1:16
	v_pack_b32_f16 v10, v31, v15
	ds_write_b32 v7, v10 offset:128
	v_lshrrev_b32_e32 v7, 4, v11
	v_mul_u32_u24_e32 v7, 48, v7
	v_or_b32_e32 v7, v7, v8
	v_lshl_add_u32 v7, v7, 2, 0
	v_pack_b32_f16 v8, v18, v38
	v_pack_b32_f16 v10, v35, v22
	ds_write2_b32 v7, v8, v10 offset1:16
	v_pack_b32_f16 v8, v23, v17
	;; [unrolled: 9-line block ×3, first 2 shown]
	ds_write_b32 v7, v8 offset:128
	v_mul_u32_u24_sdwa v7, v3, s6 dst_sel:DWORD dst_unused:UNUSED_PAD src0_sel:WORD_0 src1_sel:DWORD
	v_lshrrev_b32_e32 v23, 21, v7
	v_mul_lo_u16_e32 v7, 48, v23
	v_sub_u16_e32 v24, v3, v7
	v_lshlrev_b32_e32 v7, 3, v24
	s_waitcnt lgkmcnt(0)
	s_barrier
	global_load_dwordx2 v[15:16], v7, s[12:13] offset:128
	v_mul_u32_u24_sdwa v7, v12, s6 dst_sel:DWORD dst_unused:UNUSED_PAD src0_sel:WORD_0 src1_sel:DWORD
	v_lshrrev_b32_e32 v7, 21, v7
	v_mul_lo_u16_e32 v8, 48, v7
	v_sub_u16_e32 v8, v12, v8
	v_lshlrev_b32_e32 v9, 3, v8
	global_load_dwordx2 v[17:18], v9, s[12:13] offset:128
	v_mul_u32_u24_sdwa v9, v11, s6 dst_sel:DWORD dst_unused:UNUSED_PAD src0_sel:WORD_0 src1_sel:DWORD
	v_lshrrev_b32_e32 v9, 21, v9
	v_mul_lo_u16_e32 v10, 48, v9
	v_sub_u16_e32 v10, v11, v10
	v_lshlrev_b32_e32 v13, 3, v10
	;; [unrolled: 6-line block ×3, first 2 shown]
	global_load_dwordx2 v[21:22], v21, s[12:13] offset:128
	ds_read_b32 v25, v0 offset:5184
	ds_read_b32 v26, v0 offset:6480
	;; [unrolled: 1-line block ×6, first 2 shown]
	s_waitcnt lgkmcnt(5)
	v_lshrrev_b32_e32 v30, 16, v25
	v_mul_u32_u24_e32 v23, 0x240, v23
	v_lshlrev_b32_e32 v24, 2, v24
	v_add3_u32 v23, 0, v23, v24
	s_waitcnt lgkmcnt(0)
	v_lshrrev_b32_e32 v34, 16, v32
	v_mul_u32_u24_e32 v7, 0x240, v7
	v_lshlrev_b32_e32 v8, 2, v8
	v_add3_u32 v7, 0, v7, v8
	s_mov_b32 s6, 0xe38f
	s_waitcnt vmcnt(3)
	v_mul_f16_sdwa v31, v15, v30 dst_sel:DWORD dst_unused:UNUSED_PAD src0_sel:WORD_1 src1_sel:DWORD
	v_mul_f16_sdwa v35, v16, v34 dst_sel:DWORD dst_unused:UNUSED_PAD src0_sel:WORD_1 src1_sel:DWORD
	v_fma_f16 v31, v15, v25, -v31
	v_mul_f16_sdwa v25, v15, v25 dst_sel:DWORD dst_unused:UNUSED_PAD src0_sel:WORD_1 src1_sel:DWORD
	v_fma_f16 v35, v16, v32, -v35
	v_mul_f16_sdwa v32, v16, v32 dst_sel:DWORD dst_unused:UNUSED_PAD src0_sel:WORD_1 src1_sel:DWORD
	v_fma_f16 v15, v15, v30, v25
	ds_read_b32 v25, v0 offset:11664
	ds_read_b32 v30, v0 offset:12960
	;; [unrolled: 1-line block ×3, first 2 shown]
	v_fma_f16 v16, v16, v34, v32
	v_lshrrev_b32_e32 v32, 16, v26
	s_waitcnt vmcnt(2)
	v_mul_f16_sdwa v34, v17, v32 dst_sel:DWORD dst_unused:UNUSED_PAD src0_sel:WORD_1 src1_sel:DWORD
	v_fma_f16 v34, v17, v26, -v34
	v_mul_f16_sdwa v26, v17, v26 dst_sel:DWORD dst_unused:UNUSED_PAD src0_sel:WORD_1 src1_sel:DWORD
	v_fma_f16 v17, v17, v32, v26
	s_waitcnt lgkmcnt(2)
	v_lshrrev_b32_e32 v26, 16, v25
	v_mul_f16_sdwa v32, v18, v26 dst_sel:DWORD dst_unused:UNUSED_PAD src0_sel:WORD_1 src1_sel:DWORD
	v_fma_f16 v32, v18, v25, -v32
	v_mul_f16_sdwa v25, v18, v25 dst_sel:DWORD dst_unused:UNUSED_PAD src0_sel:WORD_1 src1_sel:DWORD
	v_fma_f16 v18, v18, v26, v25
	v_lshrrev_b32_e32 v25, 16, v27
	s_waitcnt vmcnt(1)
	v_mul_f16_sdwa v26, v19, v25 dst_sel:DWORD dst_unused:UNUSED_PAD src0_sel:WORD_1 src1_sel:DWORD
	v_fma_f16 v26, v19, v27, -v26
	v_mul_f16_sdwa v27, v19, v27 dst_sel:DWORD dst_unused:UNUSED_PAD src0_sel:WORD_1 src1_sel:DWORD
	v_fma_f16 v19, v19, v25, v27
	s_waitcnt lgkmcnt(1)
	v_lshrrev_b32_e32 v25, 16, v30
	v_mul_f16_sdwa v27, v25, v20 dst_sel:DWORD dst_unused:UNUSED_PAD src0_sel:DWORD src1_sel:WORD_1
	ds_read_b32 v36, v0
	v_fma_f16 v27, v30, v20, -v27
	v_mul_f16_sdwa v30, v30, v20 dst_sel:DWORD dst_unused:UNUSED_PAD src0_sel:DWORD src1_sel:WORD_1
	v_fma_f16 v20, v25, v20, v30
	v_lshrrev_b32_e32 v25, 16, v28
	s_waitcnt vmcnt(0)
	v_mul_f16_sdwa v30, v25, v21 dst_sel:DWORD dst_unused:UNUSED_PAD src0_sel:DWORD src1_sel:WORD_1
	v_fma_f16 v30, v28, v21, -v30
	v_mul_f16_sdwa v28, v28, v21 dst_sel:DWORD dst_unused:UNUSED_PAD src0_sel:DWORD src1_sel:WORD_1
	v_add_f16_e32 v37, v31, v35
	v_fma_f16 v21, v25, v21, v28
	s_waitcnt lgkmcnt(1)
	v_lshrrev_b32_e32 v25, 16, v33
	s_waitcnt lgkmcnt(0)
	v_fma_f16 v37, v37, -0.5, v36
	v_sub_f16_e32 v38, v15, v16
	v_mul_f16_sdwa v28, v25, v22 dst_sel:DWORD dst_unused:UNUSED_PAD src0_sel:DWORD src1_sel:WORD_1
	v_fma_f16 v39, v38, s4, v37
	v_fma_f16 v37, v38, s5, v37
	v_lshrrev_b32_e32 v38, 16, v36
	v_fma_f16 v28, v33, v22, -v28
	v_mul_f16_sdwa v33, v33, v22 dst_sel:DWORD dst_unused:UNUSED_PAD src0_sel:DWORD src1_sel:WORD_1
	v_add_f16_e32 v40, v38, v15
	v_add_f16_e32 v15, v15, v16
	v_fma_f16 v22, v25, v22, v33
	ds_read_b32 v25, v0 offset:1296
	ds_read_b32 v33, v0 offset:2592
	v_add_f16_e32 v40, v40, v16
	v_fma_f16 v15, v15, -0.5, v38
	v_add_f16_e32 v16, v36, v31
	v_sub_f16_e32 v31, v31, v35
	v_add_f16_e32 v16, v16, v35
	v_fma_f16 v35, v31, s5, v15
	v_pack_b32_f16 v16, v16, v40
	v_pack_b32_f16 v24, v39, v35
	s_waitcnt lgkmcnt(0)
	s_barrier
	ds_write2_b32 v23, v16, v24 offset1:48
	v_add_f16_e32 v16, v34, v32
	v_fma_f16 v16, v16, -0.5, v25
	v_sub_f16_e32 v24, v17, v18
	v_fma_f16 v15, v31, s4, v15
	v_fma_f16 v31, v24, s4, v16
	v_fma_f16 v16, v24, s5, v16
	v_lshrrev_b32_e32 v24, 16, v25
	v_add_f16_e32 v35, v24, v17
	v_add_f16_e32 v17, v17, v18
	v_fma_f16 v17, v17, -0.5, v24
	v_sub_f16_e32 v24, v34, v32
	v_add_f16_e32 v35, v35, v18
	v_add_f16_e32 v18, v25, v34
	v_fma_f16 v25, v24, s5, v17
	v_fma_f16 v17, v24, s4, v17
	v_add_f16_e32 v24, v26, v27
	v_add_f16_e32 v18, v18, v32
	v_fma_f16 v24, v24, -0.5, v33
	v_sub_f16_e32 v32, v19, v20
	v_fma_f16 v34, v32, s4, v24
	v_fma_f16 v24, v32, s5, v24
	v_lshrrev_b32_e32 v32, 16, v33
	v_add_f16_e32 v36, v32, v19
	v_add_f16_e32 v19, v19, v20
	;; [unrolled: 1-line block ×3, first 2 shown]
	v_fma_f16 v19, v19, -0.5, v32
	v_add_f16_e32 v20, v33, v26
	v_sub_f16_e32 v26, v26, v27
	v_add_f16_e32 v20, v20, v27
	v_fma_f16 v27, v26, s5, v19
	v_fma_f16 v19, v26, s4, v19
	v_add_f16_e32 v26, v30, v28
	v_pack_b32_f16 v15, v37, v15
	v_fma_f16 v26, v26, -0.5, v29
	v_sub_f16_e32 v32, v21, v22
	ds_write_b32 v23, v15 offset:384
	v_pack_b32_f16 v8, v18, v35
	v_pack_b32_f16 v15, v31, v25
	v_fma_f16 v33, v32, s4, v26
	v_fma_f16 v26, v32, s5, v26
	v_lshrrev_b32_e32 v32, 16, v29
	ds_write2_b32 v7, v8, v15 offset1:48
	v_pack_b32_f16 v8, v16, v17
	v_add_f16_e32 v38, v32, v21
	ds_write_b32 v7, v8 offset:384
	v_mul_u32_u24_e32 v7, 0x240, v9
	v_lshlrev_b32_e32 v8, 2, v10
	v_add_f16_e32 v38, v38, v22
	v_add_f16_e32 v21, v21, v22
	;; [unrolled: 1-line block ×3, first 2 shown]
	v_add3_u32 v7, 0, v7, v8
	v_pack_b32_f16 v8, v20, v36
	v_pack_b32_f16 v9, v34, v27
	v_fma_f16 v21, v21, -0.5, v32
	v_add_f16_e32 v22, v22, v28
	v_sub_f16_e32 v28, v30, v28
	ds_write2_b32 v7, v8, v9 offset1:48
	v_pack_b32_f16 v8, v24, v19
	v_fma_f16 v29, v28, s5, v21
	ds_write_b32 v7, v8 offset:384
	v_mul_u32_u24_e32 v7, 0x240, v13
	v_lshlrev_b32_e32 v8, 2, v14
	v_fma_f16 v21, v28, s4, v21
	v_add3_u32 v7, 0, v7, v8
	v_pack_b32_f16 v8, v22, v38
	v_pack_b32_f16 v9, v33, v29
	ds_write2_b32 v7, v8, v9 offset1:48
	v_pack_b32_f16 v8, v26, v21
	ds_write_b32 v7, v8 offset:384
	v_mul_u32_u24_sdwa v7, v3, s6 dst_sel:DWORD dst_unused:UNUSED_PAD src0_sel:WORD_0 src1_sel:DWORD
	v_lshrrev_b32_e32 v23, 23, v7
	v_mul_lo_u16_e32 v7, 0x90, v23
	v_sub_u16_e32 v24, v3, v7
	v_lshlrev_b32_e32 v7, 3, v24
	s_waitcnt lgkmcnt(0)
	s_barrier
	global_load_dwordx2 v[15:16], v7, s[12:13] offset:512
	v_mul_u32_u24_sdwa v7, v12, s6 dst_sel:DWORD dst_unused:UNUSED_PAD src0_sel:WORD_0 src1_sel:DWORD
	v_lshrrev_b32_e32 v7, 23, v7
	v_mul_lo_u16_e32 v8, 0x90, v7
	v_sub_u16_e32 v8, v12, v8
	v_lshlrev_b32_e32 v9, 3, v8
	global_load_dwordx2 v[17:18], v9, s[12:13] offset:512
	v_mul_u32_u24_sdwa v9, v11, s6 dst_sel:DWORD dst_unused:UNUSED_PAD src0_sel:WORD_0 src1_sel:DWORD
	v_lshrrev_b32_e32 v9, 23, v9
	v_mul_lo_u16_e32 v10, 0x90, v9
	v_sub_u16_e32 v10, v11, v10
	v_lshlrev_b32_e32 v13, 3, v10
	;; [unrolled: 6-line block ×3, first 2 shown]
	global_load_dwordx2 v[21:22], v21, s[12:13] offset:512
	ds_read_b32 v25, v0 offset:5184
	ds_read_b32 v26, v0 offset:6480
	;; [unrolled: 1-line block ×6, first 2 shown]
	s_waitcnt lgkmcnt(5)
	v_lshrrev_b32_e32 v30, 16, v25
	v_mul_u32_u24_e32 v23, 0x6c0, v23
	v_lshlrev_b32_e32 v24, 2, v24
	v_add3_u32 v23, 0, v23, v24
	s_waitcnt lgkmcnt(0)
	v_lshrrev_b32_e32 v34, 16, v32
	v_mul_u32_u24_e32 v7, 0x6c0, v7
	v_lshlrev_b32_e32 v8, 2, v8
	v_add3_u32 v7, 0, v7, v8
	s_movk_i32 s6, 0x6c
	s_waitcnt vmcnt(3)
	v_mul_f16_sdwa v31, v15, v30 dst_sel:DWORD dst_unused:UNUSED_PAD src0_sel:WORD_1 src1_sel:DWORD
	v_mul_f16_sdwa v35, v16, v34 dst_sel:DWORD dst_unused:UNUSED_PAD src0_sel:WORD_1 src1_sel:DWORD
	v_fma_f16 v31, v15, v25, -v31
	v_mul_f16_sdwa v25, v15, v25 dst_sel:DWORD dst_unused:UNUSED_PAD src0_sel:WORD_1 src1_sel:DWORD
	v_fma_f16 v35, v16, v32, -v35
	v_mul_f16_sdwa v32, v16, v32 dst_sel:DWORD dst_unused:UNUSED_PAD src0_sel:WORD_1 src1_sel:DWORD
	v_fma_f16 v15, v15, v30, v25
	ds_read_b32 v25, v0 offset:11664
	ds_read_b32 v30, v0 offset:12960
	;; [unrolled: 1-line block ×3, first 2 shown]
	v_fma_f16 v16, v16, v34, v32
	v_lshrrev_b32_e32 v32, 16, v26
	s_waitcnt vmcnt(2)
	v_mul_f16_sdwa v34, v17, v32 dst_sel:DWORD dst_unused:UNUSED_PAD src0_sel:WORD_1 src1_sel:DWORD
	v_fma_f16 v34, v17, v26, -v34
	v_mul_f16_sdwa v26, v17, v26 dst_sel:DWORD dst_unused:UNUSED_PAD src0_sel:WORD_1 src1_sel:DWORD
	v_fma_f16 v17, v17, v32, v26
	s_waitcnt lgkmcnt(2)
	v_lshrrev_b32_e32 v26, 16, v25
	v_mul_f16_sdwa v32, v18, v26 dst_sel:DWORD dst_unused:UNUSED_PAD src0_sel:WORD_1 src1_sel:DWORD
	v_fma_f16 v32, v18, v25, -v32
	v_mul_f16_sdwa v25, v18, v25 dst_sel:DWORD dst_unused:UNUSED_PAD src0_sel:WORD_1 src1_sel:DWORD
	v_fma_f16 v18, v18, v26, v25
	v_lshrrev_b32_e32 v25, 16, v27
	s_waitcnt vmcnt(1)
	v_mul_f16_sdwa v26, v19, v25 dst_sel:DWORD dst_unused:UNUSED_PAD src0_sel:WORD_1 src1_sel:DWORD
	v_fma_f16 v26, v19, v27, -v26
	v_mul_f16_sdwa v27, v19, v27 dst_sel:DWORD dst_unused:UNUSED_PAD src0_sel:WORD_1 src1_sel:DWORD
	v_fma_f16 v19, v19, v25, v27
	s_waitcnt lgkmcnt(1)
	v_lshrrev_b32_e32 v25, 16, v30
	v_mul_f16_sdwa v27, v25, v20 dst_sel:DWORD dst_unused:UNUSED_PAD src0_sel:DWORD src1_sel:WORD_1
	ds_read_b32 v36, v0
	v_fma_f16 v27, v30, v20, -v27
	v_mul_f16_sdwa v30, v30, v20 dst_sel:DWORD dst_unused:UNUSED_PAD src0_sel:DWORD src1_sel:WORD_1
	v_fma_f16 v20, v25, v20, v30
	v_lshrrev_b32_e32 v25, 16, v28
	s_waitcnt vmcnt(0)
	v_mul_f16_sdwa v30, v25, v21 dst_sel:DWORD dst_unused:UNUSED_PAD src0_sel:DWORD src1_sel:WORD_1
	v_fma_f16 v30, v28, v21, -v30
	v_mul_f16_sdwa v28, v28, v21 dst_sel:DWORD dst_unused:UNUSED_PAD src0_sel:DWORD src1_sel:WORD_1
	v_add_f16_e32 v37, v31, v35
	v_fma_f16 v21, v25, v21, v28
	s_waitcnt lgkmcnt(1)
	v_lshrrev_b32_e32 v25, 16, v33
	s_waitcnt lgkmcnt(0)
	v_fma_f16 v37, v37, -0.5, v36
	v_sub_f16_e32 v38, v15, v16
	v_mul_f16_sdwa v28, v25, v22 dst_sel:DWORD dst_unused:UNUSED_PAD src0_sel:DWORD src1_sel:WORD_1
	v_fma_f16 v39, v38, s4, v37
	v_fma_f16 v37, v38, s5, v37
	v_lshrrev_b32_e32 v38, 16, v36
	v_fma_f16 v28, v33, v22, -v28
	v_mul_f16_sdwa v33, v33, v22 dst_sel:DWORD dst_unused:UNUSED_PAD src0_sel:DWORD src1_sel:WORD_1
	v_add_f16_e32 v40, v38, v15
	v_add_f16_e32 v15, v15, v16
	v_fma_f16 v22, v25, v22, v33
	ds_read_b32 v25, v0 offset:1296
	ds_read_b32 v33, v0 offset:2592
	v_add_f16_e32 v40, v40, v16
	v_fma_f16 v15, v15, -0.5, v38
	v_add_f16_e32 v16, v36, v31
	v_sub_f16_e32 v31, v31, v35
	v_add_f16_e32 v16, v16, v35
	v_fma_f16 v35, v31, s5, v15
	v_pack_b32_f16 v16, v16, v40
	v_pack_b32_f16 v24, v39, v35
	s_waitcnt lgkmcnt(0)
	s_barrier
	ds_write2_b32 v23, v16, v24 offset1:144
	v_add_f16_e32 v16, v34, v32
	v_fma_f16 v16, v16, -0.5, v25
	v_sub_f16_e32 v24, v17, v18
	v_fma_f16 v15, v31, s4, v15
	v_fma_f16 v31, v24, s4, v16
	;; [unrolled: 1-line block ×3, first 2 shown]
	v_lshrrev_b32_e32 v24, 16, v25
	v_add_f16_e32 v35, v24, v17
	v_add_f16_e32 v17, v17, v18
	v_fma_f16 v17, v17, -0.5, v24
	v_sub_f16_e32 v24, v34, v32
	v_add_f16_e32 v35, v35, v18
	v_add_f16_e32 v18, v25, v34
	v_fma_f16 v25, v24, s5, v17
	v_fma_f16 v17, v24, s4, v17
	v_add_f16_e32 v24, v26, v27
	v_add_f16_e32 v18, v18, v32
	v_fma_f16 v24, v24, -0.5, v33
	v_sub_f16_e32 v32, v19, v20
	v_fma_f16 v34, v32, s4, v24
	v_fma_f16 v24, v32, s5, v24
	v_lshrrev_b32_e32 v32, 16, v33
	v_add_f16_e32 v36, v32, v19
	v_add_f16_e32 v19, v19, v20
	;; [unrolled: 1-line block ×3, first 2 shown]
	v_fma_f16 v19, v19, -0.5, v32
	v_add_f16_e32 v20, v33, v26
	v_sub_f16_e32 v26, v26, v27
	v_add_f16_e32 v20, v20, v27
	v_fma_f16 v27, v26, s5, v19
	v_fma_f16 v19, v26, s4, v19
	v_add_f16_e32 v26, v30, v28
	v_pack_b32_f16 v15, v37, v15
	v_fma_f16 v26, v26, -0.5, v29
	v_sub_f16_e32 v32, v21, v22
	ds_write_b32 v23, v15 offset:1152
	v_pack_b32_f16 v8, v18, v35
	v_pack_b32_f16 v15, v31, v25
	v_fma_f16 v33, v32, s4, v26
	v_fma_f16 v26, v32, s5, v26
	v_lshrrev_b32_e32 v32, 16, v29
	ds_write2_b32 v7, v8, v15 offset1:144
	v_pack_b32_f16 v8, v16, v17
	v_add_f16_e32 v38, v32, v21
	ds_write_b32 v7, v8 offset:1152
	v_mul_u32_u24_e32 v7, 0x6c0, v9
	v_lshlrev_b32_e32 v8, 2, v10
	v_add_f16_e32 v38, v38, v22
	v_add_f16_e32 v21, v21, v22
	;; [unrolled: 1-line block ×3, first 2 shown]
	v_add3_u32 v7, 0, v7, v8
	v_pack_b32_f16 v8, v20, v36
	v_pack_b32_f16 v9, v34, v27
	v_fma_f16 v21, v21, -0.5, v32
	v_add_f16_e32 v22, v22, v28
	v_sub_f16_e32 v28, v30, v28
	ds_write2_b32 v7, v8, v9 offset1:144
	v_pack_b32_f16 v8, v24, v19
	v_fma_f16 v29, v28, s5, v21
	ds_write_b32 v7, v8 offset:1152
	v_mul_u32_u24_e32 v7, 0x6c0, v13
	v_lshlrev_b32_e32 v8, 2, v14
	v_fma_f16 v21, v28, s4, v21
	v_add3_u32 v7, 0, v7, v8
	v_pack_b32_f16 v8, v22, v38
	v_pack_b32_f16 v9, v33, v29
	ds_write2_b32 v7, v8, v9 offset1:144
	v_pack_b32_f16 v8, v26, v21
	ds_write_b32 v7, v8 offset:1152
	v_lshlrev_b32_e32 v7, 1, v3
	v_mov_b32_e32 v8, 0
	v_lshlrev_b64 v[9:10], 2, v[7:8]
	v_mov_b32_e32 v13, s13
	v_add_co_u32_e32 v9, vcc, s12, v9
	v_addc_co_u32_e32 v10, vcc, v13, v10, vcc
	v_add_u32_e32 v7, 0xffffff94, v3
	v_cmp_gt_u32_e32 vcc, s6, v3
	v_cndmask_b32_e32 v22, v7, v12, vcc
	v_lshlrev_b32_e32 v7, 1, v22
	v_lshlrev_b64 v[16:17], 2, v[7:8]
	s_waitcnt lgkmcnt(0)
	s_barrier
	global_load_dwordx2 v[14:15], v[9:10], off offset:1664
	v_add_co_u32_e32 v16, vcc, s12, v16
	v_addc_co_u32_e32 v17, vcc, v13, v17, vcc
	global_load_dwordx2 v[16:17], v[16:17], off offset:1664
	v_lshrrev_b16_e32 v7, 4, v11
	v_mul_u32_u24_e32 v7, 0x12f7, v7
	v_lshrrev_b32_e32 v7, 17, v7
	v_mul_lo_u16_e32 v18, 0x1b0, v7
	v_sub_u16_e32 v23, v11, v18
	v_lshlrev_b32_e32 v18, 3, v23
	global_load_dwordx2 v[18:19], v18, s[12:13] offset:1664
	v_lshrrev_b16_e32 v20, 4, v4
	v_mul_u32_u24_e32 v20, 0x12f7, v20
	v_lshrrev_b32_e32 v20, 17, v20
	v_mul_lo_u16_e32 v20, 0x1b0, v20
	v_sub_u16_e32 v24, v4, v20
	v_lshlrev_b32_e32 v20, 3, v24
	global_load_dwordx2 v[20:21], v20, s[12:13] offset:1664
	ds_read_b32 v25, v0 offset:5184
	ds_read_b32 v26, v0 offset:6480
	;; [unrolled: 1-line block ×6, first 2 shown]
	s_waitcnt lgkmcnt(5)
	v_lshrrev_b32_e32 v30, 16, v25
	s_movk_i32 s6, 0x6b
	v_cmp_lt_u32_e32 vcc, s6, v3
	v_mul_u32_u24_e32 v7, 0x1440, v7
	s_waitcnt lgkmcnt(0)
	v_lshrrev_b32_e32 v34, 16, v32
	s_movk_i32 s6, 0x1000
	s_waitcnt vmcnt(3)
	v_mul_f16_sdwa v31, v14, v30 dst_sel:DWORD dst_unused:UNUSED_PAD src0_sel:WORD_1 src1_sel:DWORD
	v_mul_f16_sdwa v35, v15, v34 dst_sel:DWORD dst_unused:UNUSED_PAD src0_sel:WORD_1 src1_sel:DWORD
	v_fma_f16 v31, v14, v25, -v31
	v_mul_f16_sdwa v25, v14, v25 dst_sel:DWORD dst_unused:UNUSED_PAD src0_sel:WORD_1 src1_sel:DWORD
	v_fma_f16 v35, v15, v32, -v35
	v_mul_f16_sdwa v32, v15, v32 dst_sel:DWORD dst_unused:UNUSED_PAD src0_sel:WORD_1 src1_sel:DWORD
	v_fma_f16 v14, v14, v30, v25
	ds_read_b32 v25, v0 offset:11664
	ds_read_b32 v30, v0 offset:12960
	;; [unrolled: 1-line block ×3, first 2 shown]
	v_fma_f16 v15, v15, v34, v32
	v_lshrrev_b32_e32 v32, 16, v26
	s_waitcnt vmcnt(2)
	v_mul_f16_sdwa v34, v16, v32 dst_sel:DWORD dst_unused:UNUSED_PAD src0_sel:WORD_1 src1_sel:DWORD
	v_fma_f16 v34, v16, v26, -v34
	v_mul_f16_sdwa v26, v16, v26 dst_sel:DWORD dst_unused:UNUSED_PAD src0_sel:WORD_1 src1_sel:DWORD
	v_fma_f16 v16, v16, v32, v26
	s_waitcnt lgkmcnt(2)
	v_lshrrev_b32_e32 v26, 16, v25
	v_mul_f16_sdwa v32, v17, v26 dst_sel:DWORD dst_unused:UNUSED_PAD src0_sel:WORD_1 src1_sel:DWORD
	v_fma_f16 v32, v17, v25, -v32
	v_mul_f16_sdwa v25, v17, v25 dst_sel:DWORD dst_unused:UNUSED_PAD src0_sel:WORD_1 src1_sel:DWORD
	v_fma_f16 v17, v17, v26, v25
	v_lshrrev_b32_e32 v25, 16, v27
	s_waitcnt vmcnt(1)
	v_mul_f16_sdwa v26, v18, v25 dst_sel:DWORD dst_unused:UNUSED_PAD src0_sel:WORD_1 src1_sel:DWORD
	v_fma_f16 v26, v18, v27, -v26
	v_mul_f16_sdwa v27, v18, v27 dst_sel:DWORD dst_unused:UNUSED_PAD src0_sel:WORD_1 src1_sel:DWORD
	v_fma_f16 v18, v18, v25, v27
	s_waitcnt lgkmcnt(1)
	v_lshrrev_b32_e32 v25, 16, v30
	v_mul_f16_sdwa v27, v25, v19 dst_sel:DWORD dst_unused:UNUSED_PAD src0_sel:DWORD src1_sel:WORD_1
	v_fma_f16 v27, v30, v19, -v27
	v_mul_f16_sdwa v30, v30, v19 dst_sel:DWORD dst_unused:UNUSED_PAD src0_sel:DWORD src1_sel:WORD_1
	v_fma_f16 v19, v25, v19, v30
	v_lshrrev_b32_e32 v25, 16, v28
	ds_read_b32 v36, v0
	s_waitcnt vmcnt(0)
	v_mul_f16_sdwa v30, v25, v20 dst_sel:DWORD dst_unused:UNUSED_PAD src0_sel:DWORD src1_sel:WORD_1
	v_fma_f16 v30, v28, v20, -v30
	v_mul_f16_sdwa v28, v28, v20 dst_sel:DWORD dst_unused:UNUSED_PAD src0_sel:DWORD src1_sel:WORD_1
	v_fma_f16 v20, v25, v20, v28
	s_waitcnt lgkmcnt(1)
	v_lshrrev_b32_e32 v25, 16, v33
	v_mul_f16_sdwa v28, v25, v21 dst_sel:DWORD dst_unused:UNUSED_PAD src0_sel:DWORD src1_sel:WORD_1
	v_add_f16_e32 v37, v31, v35
	v_fma_f16 v28, v33, v21, -v28
	v_mul_f16_sdwa v33, v33, v21 dst_sel:DWORD dst_unused:UNUSED_PAD src0_sel:DWORD src1_sel:WORD_1
	s_waitcnt lgkmcnt(0)
	v_fma_f16 v37, v37, -0.5, v36
	v_sub_f16_e32 v38, v14, v15
	v_fma_f16 v21, v25, v21, v33
	ds_read_b32 v25, v0 offset:1296
	ds_read_b32 v33, v0 offset:2592
	v_fma_f16 v39, v38, s4, v37
	v_fma_f16 v37, v38, s5, v37
	v_lshrrev_b32_e32 v38, 16, v36
	v_add_f16_e32 v40, v38, v14
	v_add_f16_e32 v14, v14, v15
	;; [unrolled: 1-line block ×3, first 2 shown]
	v_fma_f16 v14, v14, -0.5, v38
	v_add_f16_e32 v15, v36, v31
	v_sub_f16_e32 v31, v31, v35
	v_add_f16_e32 v15, v15, v35
	v_fma_f16 v35, v31, s5, v14
	v_fma_f16 v14, v31, s4, v14
	v_add_f16_e32 v31, v34, v32
	s_waitcnt lgkmcnt(1)
	v_fma_f16 v31, v31, -0.5, v25
	v_sub_f16_e32 v36, v16, v17
	v_fma_f16 v38, v36, s4, v31
	v_fma_f16 v31, v36, s5, v31
	v_lshrrev_b32_e32 v36, 16, v25
	v_add_f16_e32 v41, v36, v16
	v_add_f16_e32 v16, v16, v17
	;; [unrolled: 1-line block ×3, first 2 shown]
	v_fma_f16 v16, v16, -0.5, v36
	v_add_f16_e32 v17, v25, v34
	v_sub_f16_e32 v25, v34, v32
	v_add_f16_e32 v17, v17, v32
	v_fma_f16 v32, v25, s5, v16
	v_fma_f16 v16, v25, s4, v16
	v_add_f16_e32 v25, v26, v27
	s_waitcnt lgkmcnt(0)
	v_fma_f16 v25, v25, -0.5, v33
	v_sub_f16_e32 v34, v18, v19
	v_pack_b32_f16 v15, v15, v40
	v_pack_b32_f16 v14, v37, v14
	v_fma_f16 v36, v34, s4, v25
	v_fma_f16 v25, v34, s5, v25
	v_lshrrev_b32_e32 v34, 16, v33
	s_barrier
	ds_write_b32 v0, v15
	v_pack_b32_f16 v15, v39, v35
	ds_write_b32 v0, v14 offset:3456
	v_mov_b32_e32 v14, 0x1440
	v_add_f16_e32 v42, v34, v18
	v_add_f16_e32 v18, v18, v19
	ds_write_b32 v0, v15 offset:1728
	v_cndmask_b32_e32 v14, 0, v14, vcc
	v_lshlrev_b32_e32 v15, 2, v22
	v_add_f16_e32 v42, v42, v19
	v_fma_f16 v18, v18, -0.5, v34
	v_add_f16_e32 v19, v33, v26
	v_sub_f16_e32 v26, v26, v27
	v_add3_u32 v14, 0, v14, v15
	v_pack_b32_f16 v15, v17, v41
	v_add_f16_e32 v19, v19, v27
	v_fma_f16 v27, v26, s5, v18
	v_fma_f16 v18, v26, s4, v18
	v_add_f16_e32 v26, v30, v28
	ds_write_b32 v14, v15
	v_pack_b32_f16 v15, v38, v32
	v_fma_f16 v26, v26, -0.5, v29
	v_sub_f16_e32 v33, v20, v21
	ds_write_b32 v14, v15 offset:1728
	v_pack_b32_f16 v15, v31, v16
	v_fma_f16 v34, v33, s4, v26
	v_fma_f16 v26, v33, s5, v26
	v_lshrrev_b32_e32 v33, 16, v29
	ds_write_b32 v14, v15 offset:3456
	v_lshlrev_b32_e32 v14, 2, v23
	v_add_f16_e32 v43, v33, v20
	v_add3_u32 v7, 0, v7, v14
	v_pack_b32_f16 v14, v19, v42
	v_add_f16_e32 v43, v43, v21
	v_add_f16_e32 v20, v20, v21
	;; [unrolled: 1-line block ×3, first 2 shown]
	ds_write_b32 v7, v14
	v_pack_b32_f16 v14, v36, v27
	v_fma_f16 v20, v20, -0.5, v33
	v_add_f16_e32 v21, v21, v28
	v_sub_f16_e32 v28, v30, v28
	ds_write_b32 v7, v14 offset:1728
	v_pack_b32_f16 v14, v25, v18
	v_fma_f16 v29, v28, s5, v20
	ds_write_b32 v7, v14 offset:3456
	v_lshl_add_u32 v7, v24, 2, 0
	v_pack_b32_f16 v14, v21, v43
	v_fma_f16 v20, v28, s4, v20
	ds_write_b32 v7, v14 offset:10368
	v_pack_b32_f16 v14, v34, v29
	ds_write_b32 v7, v14 offset:12096
	v_pack_b32_f16 v14, v26, v20
	ds_write_b32 v7, v14 offset:13824
	v_lshlrev_b32_e32 v7, 1, v12
	v_add_co_u32_e32 v9, vcc, s6, v9
	v_lshlrev_b64 v[14:15], 2, v[7:8]
	v_addc_co_u32_e32 v10, vcc, 0, v10, vcc
	v_add_co_u32_e32 v7, vcc, s12, v14
	v_addc_co_u32_e32 v12, vcc, v13, v15, vcc
	s_waitcnt lgkmcnt(0)
	s_barrier
	global_load_dwordx2 v[9:10], v[9:10], off offset:1024
	v_add_co_u32_e32 v14, vcc, s6, v7
	v_lshlrev_b32_e32 v7, 1, v11
	v_addc_co_u32_e32 v15, vcc, 0, v12, vcc
	v_lshlrev_b64 v[11:12], 2, v[7:8]
	global_load_dwordx2 v[14:15], v[14:15], off offset:1024
	v_add_co_u32_e32 v7, vcc, s12, v11
	v_addc_co_u32_e32 v12, vcc, v13, v12, vcc
	v_add_co_u32_e32 v11, vcc, s6, v7
	v_lshlrev_b32_e32 v7, 1, v4
	v_lshlrev_b64 v[16:17], 2, v[7:8]
	v_addc_co_u32_e32 v12, vcc, 0, v12, vcc
	v_add_co_u32_e32 v4, vcc, s12, v16
	v_addc_co_u32_e32 v7, vcc, v13, v17, vcc
	v_add_co_u32_e32 v16, vcc, s6, v4
	v_addc_co_u32_e32 v17, vcc, 0, v7, vcc
	global_load_dwordx2 v[16:17], v[16:17], off offset:1024
	s_mov_b32 s6, 0xffff
	global_load_dwordx2 v[11:12], v[11:12], off offset:1024
	ds_read_b32 v4, v0
	ds_read_b32 v7, v0 offset:1296
	ds_read_b32 v13, v0 offset:2592
	;; [unrolled: 1-line block ×10, first 2 shown]
	s_waitcnt lgkmcnt(4)
	v_lshrrev_b32_e32 v31, 16, v21
	ds_read_b32 v29, v0 offset:14256
	v_lshrrev_b32_e32 v26, 16, v4
	v_lshrrev_b32_e32 v27, 16, v7
	s_waitcnt lgkmcnt(1)
	v_lshrrev_b32_e32 v30, 16, v25
	v_lshrrev_b32_e32 v28, 16, v13
	s_waitcnt vmcnt(0) lgkmcnt(0)
	s_barrier
	v_cmp_ne_u32_e32 vcc, 0, v3
	v_mul_f16_sdwa v32, v9, v31 dst_sel:DWORD dst_unused:UNUSED_PAD src0_sel:WORD_1 src1_sel:DWORD
	v_fma_f16 v32, v9, v21, -v32
	v_mul_f16_sdwa v21, v9, v21 dst_sel:DWORD dst_unused:UNUSED_PAD src0_sel:WORD_1 src1_sel:DWORD
	v_fma_f16 v9, v9, v31, v21
	v_lshrrev_b32_e32 v21, 16, v23
	v_mul_f16_sdwa v31, v10, v21 dst_sel:DWORD dst_unused:UNUSED_PAD src0_sel:WORD_1 src1_sel:DWORD
	v_fma_f16 v31, v10, v23, -v31
	v_mul_f16_sdwa v23, v10, v23 dst_sel:DWORD dst_unused:UNUSED_PAD src0_sel:WORD_1 src1_sel:DWORD
	v_fma_f16 v10, v10, v21, v23
	v_lshrrev_b32_e32 v21, 16, v20
	;; [unrolled: 5-line block ×4, first 2 shown]
	v_lshrrev_b32_e32 v20, 16, v22
	v_mul_f16_sdwa v33, v11, v24 dst_sel:DWORD dst_unused:UNUSED_PAD src0_sel:WORD_1 src1_sel:DWORD
	v_fma_f16 v33, v11, v18, -v33
	v_mul_f16_sdwa v18, v11, v18 dst_sel:DWORD dst_unused:UNUSED_PAD src0_sel:WORD_1 src1_sel:DWORD
	v_fma_f16 v11, v11, v24, v18
	v_mul_f16_sdwa v18, v30, v12 dst_sel:DWORD dst_unused:UNUSED_PAD src0_sel:DWORD src1_sel:WORD_1
	v_mul_f16_sdwa v24, v25, v12 dst_sel:DWORD dst_unused:UNUSED_PAD src0_sel:DWORD src1_sel:WORD_1
	v_fma_f16 v18, v25, v12, -v18
	v_fma_f16 v12, v30, v12, v24
	v_lshrrev_b32_e32 v24, 16, v19
	v_mul_f16_sdwa v30, v24, v16 dst_sel:DWORD dst_unused:UNUSED_PAD src0_sel:DWORD src1_sel:WORD_1
	v_lshrrev_b32_e32 v25, 16, v29
	v_fma_f16 v30, v19, v16, -v30
	v_mul_f16_sdwa v19, v19, v16 dst_sel:DWORD dst_unused:UNUSED_PAD src0_sel:DWORD src1_sel:WORD_1
	v_fma_f16 v16, v24, v16, v19
	v_mul_f16_sdwa v19, v25, v17 dst_sel:DWORD dst_unused:UNUSED_PAD src0_sel:DWORD src1_sel:WORD_1
	v_mul_f16_sdwa v24, v29, v17 dst_sel:DWORD dst_unused:UNUSED_PAD src0_sel:DWORD src1_sel:WORD_1
	v_fma_f16 v19, v29, v17, -v19
	v_fma_f16 v17, v25, v17, v24
	v_add_f16_e32 v25, v32, v31
	v_add_f16_e32 v24, v4, v32
	v_fma_f16 v4, v25, -0.5, v4
	v_sub_f16_e32 v25, v9, v10
	v_fma_f16 v29, v25, s4, v4
	v_fma_f16 v4, v25, s5, v4
	v_add_f16_e32 v25, v26, v9
	v_add_f16_e32 v9, v9, v10
	;; [unrolled: 1-line block ×4, first 2 shown]
	v_fma_f16 v9, v9, -0.5, v26
	v_sub_f16_e32 v10, v32, v31
	v_add_f16_e32 v31, v23, v21
	v_fma_f16 v26, v10, s5, v9
	v_fma_f16 v9, v10, s4, v9
	v_add_f16_e32 v10, v7, v23
	v_fma_f16 v7, v31, -0.5, v7
	v_sub_f16_e32 v31, v14, v15
	v_fma_f16 v32, v31, s4, v7
	v_fma_f16 v7, v31, s5, v7
	v_add_f16_e32 v31, v27, v14
	v_add_f16_e32 v14, v14, v15
	;; [unrolled: 1-line block ×4, first 2 shown]
	v_fma_f16 v14, v14, -0.5, v27
	v_sub_f16_e32 v15, v23, v21
	v_add_f16_e32 v23, v33, v18
	v_pack_b32_f16 v4, v4, v9
	v_fma_f16 v21, v15, s5, v14
	v_fma_f16 v14, v15, s4, v14
	v_add_f16_e32 v15, v13, v33
	v_fma_f16 v13, v23, -0.5, v13
	v_sub_f16_e32 v23, v11, v12
	ds_write_b32 v0, v4 offset:10368
	v_pack_b32_f16 v4, v10, v31
	v_fma_f16 v27, v23, s4, v13
	v_fma_f16 v13, v23, s5, v13
	v_add_f16_e32 v23, v28, v11
	v_add_f16_e32 v11, v11, v12
	ds_write_b32 v0, v4 offset:1296
	v_pack_b32_f16 v4, v32, v21
	v_add_f16_e32 v15, v15, v18
	v_add_f16_e32 v23, v23, v12
	v_fma_f16 v11, v11, -0.5, v28
	v_sub_f16_e32 v12, v33, v18
	v_add_f16_e32 v28, v30, v19
	ds_write_b32 v0, v4 offset:6480
	v_pack_b32_f16 v4, v7, v14
	v_fma_f16 v18, v12, s5, v11
	v_fma_f16 v11, v12, s4, v11
	v_add_f16_e32 v12, v22, v30
	v_fma_f16 v22, v28, -0.5, v22
	v_sub_f16_e32 v28, v16, v17
	ds_write_b32 v0, v4 offset:11664
	v_pack_b32_f16 v4, v15, v23
	v_fma_f16 v33, v28, s4, v22
	v_fma_f16 v22, v28, s5, v22
	v_add_f16_e32 v28, v20, v16
	v_add_f16_e32 v16, v16, v17
	ds_write_b32 v0, v4 offset:2592
	v_pack_b32_f16 v4, v27, v18
	v_add_f16_e32 v12, v12, v19
	v_add_f16_e32 v28, v28, v17
	v_fma_f16 v16, v16, -0.5, v20
	v_sub_f16_e32 v17, v30, v19
	ds_write_b32 v0, v4 offset:7776
	v_pack_b32_f16 v4, v13, v11
	v_fma_f16 v19, v17, s5, v16
	ds_write_b32 v0, v4 offset:12960
	v_pack_b32_f16 v4, v12, v28
	v_fma_f16 v16, v17, s4, v16
	v_pack_b32_f16 v17, v24, v25
	ds_write_b32 v0, v4 offset:3888
	v_pack_b32_f16 v4, v33, v19
	ds_write_b32 v0, v17
	v_pack_b32_f16 v17, v29, v26
	ds_write_b32 v0, v4 offset:9072
	v_pack_b32_f16 v4, v22, v16
	ds_write_b32 v0, v17 offset:5184
	ds_write_b32 v0, v4 offset:14256
	s_waitcnt lgkmcnt(0)
	s_barrier
	ds_read_b32 v14, v0
	v_lshlrev_b32_e32 v4, 2, v3
	v_sub_u32_e32 v7, 0, v4
                                        ; implicit-def: $vgpr13
                                        ; implicit-def: $vgpr11
                                        ; implicit-def: $vgpr12
                                        ; implicit-def: $vgpr9_vgpr10
	s_and_saveexec_b64 s[4:5], vcc
	s_xor_b64 s[4:5], exec, s[4:5]
	s_cbranch_execz .LBB0_17
; %bb.16:
	v_mov_b32_e32 v4, v8
	v_lshlrev_b64 v[8:9], 2, v[3:4]
	v_mov_b32_e32 v10, s8
	v_add_co_u32_e32 v8, vcc, s7, v8
	v_addc_co_u32_e32 v9, vcc, v10, v9, vcc
	global_load_dword v8, v[8:9], off
	ds_read_b32 v9, v7 offset:15552
	s_waitcnt lgkmcnt(0)
	v_pk_add_f16 v10, v14, v9 neg_lo:[0,1] neg_hi:[0,1]
	v_pk_add_f16 v9, v9, v14
	v_bfi_b32 v11, s6, v10, v9
	v_bfi_b32 v9, s6, v9, v10
	v_pk_mul_f16 v10, v11, 0.5 op_sel_hi:[1,0]
	v_pk_mul_f16 v11, v9, 0.5 op_sel_hi:[1,0]
                                        ; implicit-def: $vgpr14
	s_waitcnt vmcnt(0)
	v_pk_mul_f16 v12, v8, v10 op_sel:[1,0]
	v_pk_mul_f16 v8, v8, v10 op_sel_hi:[0,1]
	v_pk_fma_f16 v9, v9, 0.5, v12 op_sel_hi:[1,0,1]
	v_sub_f16_e32 v10, v11, v12
	v_pk_add_f16 v13, v9, v8 op_sel:[0,1] op_sel_hi:[1,0]
	v_pk_add_f16 v9, v9, v8 op_sel:[0,1] op_sel_hi:[1,0] neg_lo:[0,1] neg_hi:[0,1]
	v_sub_f16_sdwa v12, v12, v11 dst_sel:DWORD dst_unused:UNUSED_PAD src0_sel:WORD_1 src1_sel:WORD_1
	v_sub_f16_sdwa v11, v10, v8 dst_sel:DWORD dst_unused:UNUSED_PAD src0_sel:DWORD src1_sel:WORD_1
	v_bfi_b32 v13, s6, v13, v9
	v_mov_b32_e32 v10, v4
	v_sub_f16_e32 v12, v12, v8
	v_mov_b32_e32 v9, v3
.LBB0_17:
	s_andn2_saveexec_b64 s[4:5], s[4:5]
	s_cbranch_execz .LBB0_19
; %bb.18:
	v_mov_b32_e32 v12, 0
	ds_read_u16 v4, v12 offset:7778
	s_waitcnt lgkmcnt(1)
	v_alignbit_b32 v8, s0, v14, 16
	v_mov_b32_e32 v9, 0
	v_pk_add_f16 v8, v8, v14
	v_sub_f16_sdwa v11, v14, v14 dst_sel:DWORD dst_unused:UNUSED_PAD src0_sel:DWORD src1_sel:WORD_1
	v_mov_b32_e32 v10, 0
	s_waitcnt lgkmcnt(0)
	v_xor_b32_e32 v4, 0x8000, v4
	v_pack_b32_f16 v13, v8, 0
	ds_write_b16 v12, v4 offset:7778
.LBB0_19:
	s_or_b64 exec, exec, s[4:5]
	v_lshlrev_b64 v[8:9], 2, v[9:10]
	v_mov_b32_e32 v4, s8
	v_add_co_u32_e32 v8, vcc, s7, v8
	v_addc_co_u32_e32 v9, vcc, v4, v9, vcc
	global_load_dword v4, v[8:9], off offset:1296
	global_load_dword v10, v[8:9], off offset:2592
	s_waitcnt lgkmcnt(0)
	global_load_dword v14, v[8:9], off offset:3888
	s_movk_i32 s5, 0x1000
	v_add_co_u32_e32 v8, vcc, s5, v8
	ds_write_b16 v7, v12 offset:15554
	ds_write_b32 v0, v13
	ds_write_b16 v7, v11 offset:15552
	v_addc_co_u32_e32 v9, vcc, 0, v9, vcc
	ds_read_b32 v11, v0 offset:1296
	ds_read_b32 v12, v7 offset:14256
	global_load_dword v13, v[8:9], off offset:1088
	global_load_dword v15, v[8:9], off offset:2384
	s_mov_b32 s4, 0xffff
	s_waitcnt lgkmcnt(0)
	v_pk_add_f16 v8, v11, v12 neg_lo:[0,1] neg_hi:[0,1]
	v_pk_add_f16 v9, v11, v12
	v_bfi_b32 v11, s4, v8, v9
	v_bfi_b32 v8, s4, v9, v8
	v_pk_mul_f16 v9, v11, 0.5 op_sel_hi:[1,0]
	v_pk_mul_f16 v11, v8, 0.5 op_sel_hi:[1,0]
	s_waitcnt vmcnt(4)
	v_pk_mul_f16 v12, v4, v9 op_sel:[1,0]
	v_pk_mul_f16 v4, v4, v9 op_sel_hi:[0,1]
	v_pk_fma_f16 v8, v8, 0.5, v12 op_sel_hi:[1,0,1]
	v_sub_f16_e32 v9, v11, v12
	v_sub_f16_sdwa v11, v12, v11 dst_sel:DWORD dst_unused:UNUSED_PAD src0_sel:WORD_1 src1_sel:WORD_1
	v_pk_add_f16 v12, v8, v4 op_sel:[0,1] op_sel_hi:[1,0]
	v_pk_add_f16 v8, v8, v4 op_sel:[0,1] op_sel_hi:[1,0] neg_lo:[0,1] neg_hi:[0,1]
	v_sub_f16_sdwa v9, v9, v4 dst_sel:DWORD dst_unused:UNUSED_PAD src0_sel:DWORD src1_sel:WORD_1
	v_sub_f16_e32 v4, v11, v4
	v_bfi_b32 v8, s4, v12, v8
	ds_write_b16 v7, v4 offset:14258
	ds_write_b32 v0, v8 offset:1296
	ds_write_b16 v7, v9 offset:14256
	ds_read_b32 v4, v0 offset:2592
	ds_read_b32 v8, v7 offset:12960
	s_waitcnt lgkmcnt(0)
	v_pk_add_f16 v9, v4, v8 neg_lo:[0,1] neg_hi:[0,1]
	v_pk_add_f16 v4, v4, v8
	v_bfi_b32 v8, s4, v9, v4
	v_bfi_b32 v4, s4, v4, v9
	v_pk_mul_f16 v8, v8, 0.5 op_sel_hi:[1,0]
	v_pk_mul_f16 v9, v4, 0.5 op_sel_hi:[1,0]
	s_waitcnt vmcnt(3)
	v_pk_mul_f16 v11, v10, v8 op_sel:[1,0]
	v_pk_mul_f16 v8, v10, v8 op_sel_hi:[0,1]
	v_pk_fma_f16 v4, v4, 0.5, v11 op_sel_hi:[1,0,1]
	v_sub_f16_e32 v10, v9, v11
	v_sub_f16_sdwa v9, v11, v9 dst_sel:DWORD dst_unused:UNUSED_PAD src0_sel:WORD_1 src1_sel:WORD_1
	v_pk_add_f16 v11, v4, v8 op_sel:[0,1] op_sel_hi:[1,0]
	v_pk_add_f16 v4, v4, v8 op_sel:[0,1] op_sel_hi:[1,0] neg_lo:[0,1] neg_hi:[0,1]
	v_sub_f16_sdwa v10, v10, v8 dst_sel:DWORD dst_unused:UNUSED_PAD src0_sel:DWORD src1_sel:WORD_1
	v_sub_f16_e32 v8, v9, v8
	v_bfi_b32 v4, s4, v11, v4
	ds_write_b16 v7, v8 offset:12962
	ds_write_b32 v0, v4 offset:2592
	ds_write_b16 v7, v10 offset:12960
	ds_read_b32 v4, v0 offset:3888
	ds_read_b32 v8, v7 offset:11664
	;; [unrolled: 23-line block ×4, first 2 shown]
	s_waitcnt lgkmcnt(0)
	v_pk_add_f16 v9, v4, v8 neg_lo:[0,1] neg_hi:[0,1]
	v_pk_add_f16 v4, v4, v8
	v_bfi_b32 v8, s4, v9, v4
	v_bfi_b32 v4, s4, v4, v9
	v_pk_mul_f16 v8, v8, 0.5 op_sel_hi:[1,0]
	v_pk_mul_f16 v4, v4, 0.5 op_sel_hi:[1,0]
	s_waitcnt vmcnt(0)
	v_pk_fma_f16 v9, v15, v8, v4 op_sel:[1,0,0]
	v_pk_mul_f16 v10, v15, v8 op_sel_hi:[0,1]
	v_pk_fma_f16 v11, v15, v8, v4 op_sel:[1,0,0] neg_lo:[1,0,0] neg_hi:[1,0,0]
	v_pk_fma_f16 v4, v15, v8, v4 op_sel:[1,0,0] neg_lo:[0,0,1] neg_hi:[0,0,1]
	v_pk_add_f16 v8, v9, v10 op_sel:[0,1] op_sel_hi:[1,0]
	v_pk_add_f16 v9, v9, v10 op_sel:[0,1] op_sel_hi:[1,0] neg_lo:[0,1] neg_hi:[0,1]
	v_pk_add_f16 v11, v11, v10 op_sel:[0,1] op_sel_hi:[1,0] neg_lo:[0,1] neg_hi:[0,1]
	v_pk_add_f16 v4, v4, v10 op_sel:[0,1] op_sel_hi:[1,0] neg_lo:[0,1] neg_hi:[0,1]
	v_bfi_b32 v8, s4, v8, v9
	v_bfi_b32 v4, s4, v11, v4
	ds_write_b32 v0, v8 offset:6480
	ds_write_b32 v7, v4 offset:9072
	s_waitcnt lgkmcnt(0)
	s_barrier
	s_and_saveexec_b64 s[4:5], s[0:1]
	s_cbranch_execz .LBB0_22
; %bb.20:
	v_mul_lo_u32 v0, s3, v5
	v_mul_lo_u32 v4, s2, v6
	v_mad_u64_u32 v[5:6], s[0:1], s2, v5, 0
	v_lshlrev_b64 v[1:2], 2, v[1:2]
	v_lshl_add_u32 v7, v3, 2, 0
	v_add3_u32 v6, v6, v4, v0
	v_lshlrev_b64 v[5:6], 2, v[5:6]
	v_mov_b32_e32 v0, s11
	v_add_co_u32_e32 v5, vcc, s10, v5
	v_mov_b32_e32 v4, 0
	v_addc_co_u32_e32 v0, vcc, v0, v6, vcc
	v_add_co_u32_e32 v1, vcc, v5, v1
	v_lshlrev_b64 v[5:6], 2, v[3:4]
	v_addc_co_u32_e32 v0, vcc, v0, v2, vcc
	v_add_co_u32_e32 v5, vcc, v1, v5
	v_addc_co_u32_e32 v6, vcc, v0, v6, vcc
	ds_read_b32 v2, v7
	ds_read_b32 v8, v7 offset:1296
	ds_read_b32 v9, v7 offset:2592
	;; [unrolled: 1-line block ×7, first 2 shown]
	s_waitcnt lgkmcnt(7)
	global_store_dword v[5:6], v2, off
	v_add_u32_e32 v5, 0x144, v3
	v_mov_b32_e32 v6, v4
	v_lshlrev_b64 v[5:6], 2, v[5:6]
	ds_read_b32 v2, v7 offset:10368
	v_add_co_u32_e32 v5, vcc, v1, v5
	v_addc_co_u32_e32 v6, vcc, v0, v6, vcc
	s_waitcnt lgkmcnt(7)
	global_store_dword v[5:6], v8, off
	v_add_u32_e32 v5, 0x288, v3
	v_mov_b32_e32 v6, v4
	v_lshlrev_b64 v[5:6], 2, v[5:6]
	s_movk_i32 s0, 0x143
	v_add_co_u32_e32 v5, vcc, v1, v5
	v_addc_co_u32_e32 v6, vcc, v0, v6, vcc
	s_waitcnt lgkmcnt(6)
	global_store_dword v[5:6], v9, off
	v_add_u32_e32 v5, 0x3cc, v3
	v_mov_b32_e32 v6, v4
	v_lshlrev_b64 v[5:6], 2, v[5:6]
	v_add_co_u32_e32 v5, vcc, v1, v5
	v_addc_co_u32_e32 v6, vcc, v0, v6, vcc
	s_waitcnt lgkmcnt(5)
	global_store_dword v[5:6], v10, off
	v_add_u32_e32 v5, 0x510, v3
	v_mov_b32_e32 v6, v4
	v_lshlrev_b64 v[5:6], 2, v[5:6]
	;; [unrolled: 7-line block ×6, first 2 shown]
	ds_read_b32 v8, v7 offset:11664
	ds_read_b32 v9, v7 offset:12960
	;; [unrolled: 1-line block ×3, first 2 shown]
	v_add_co_u32_e32 v5, vcc, v1, v5
	v_addc_co_u32_e32 v6, vcc, v0, v6, vcc
	s_waitcnt lgkmcnt(3)
	global_store_dword v[5:6], v2, off
	v_add_u32_e32 v5, 0xb64, v3
	v_mov_b32_e32 v6, v4
	v_lshlrev_b64 v[5:6], 2, v[5:6]
	v_add_co_u32_e32 v5, vcc, v1, v5
	v_addc_co_u32_e32 v6, vcc, v0, v6, vcc
	s_waitcnt lgkmcnt(2)
	global_store_dword v[5:6], v8, off
	v_add_u32_e32 v5, 0xca8, v3
	v_mov_b32_e32 v6, v4
	v_lshlrev_b64 v[5:6], 2, v[5:6]
	;; [unrolled: 7-line block ×3, first 2 shown]
	v_add_co_u32_e32 v5, vcc, v1, v5
	v_addc_co_u32_e32 v6, vcc, v0, v6, vcc
	v_cmp_eq_u32_e32 vcc, s0, v3
	s_waitcnt lgkmcnt(0)
	global_store_dword v[5:6], v7, off
	s_and_b64 exec, exec, vcc
	s_cbranch_execz .LBB0_22
; %bb.21:
	ds_read_b32 v3, v4 offset:15552
	v_add_co_u32_e32 v1, vcc, 0x3000, v1
	v_addc_co_u32_e32 v2, vcc, 0, v0, vcc
	s_waitcnt lgkmcnt(0)
	global_store_dword v[1:2], v3, off offset:3264
.LBB0_22:
	s_endpgm
	.section	.rodata,"a",@progbits
	.p2align	6, 0x0
	.amdhsa_kernel fft_rtc_fwd_len3888_factors_16_3_3_3_3_3_wgs_324_tpt_324_halfLds_half_op_CI_CI_unitstride_sbrr_R2C_dirReg
		.amdhsa_group_segment_fixed_size 0
		.amdhsa_private_segment_fixed_size 0
		.amdhsa_kernarg_size 104
		.amdhsa_user_sgpr_count 6
		.amdhsa_user_sgpr_private_segment_buffer 1
		.amdhsa_user_sgpr_dispatch_ptr 0
		.amdhsa_user_sgpr_queue_ptr 0
		.amdhsa_user_sgpr_kernarg_segment_ptr 1
		.amdhsa_user_sgpr_dispatch_id 0
		.amdhsa_user_sgpr_flat_scratch_init 0
		.amdhsa_user_sgpr_private_segment_size 0
		.amdhsa_uses_dynamic_stack 0
		.amdhsa_system_sgpr_private_segment_wavefront_offset 0
		.amdhsa_system_sgpr_workgroup_id_x 1
		.amdhsa_system_sgpr_workgroup_id_y 0
		.amdhsa_system_sgpr_workgroup_id_z 0
		.amdhsa_system_sgpr_workgroup_info 0
		.amdhsa_system_vgpr_workitem_id 0
		.amdhsa_next_free_vgpr 47
		.amdhsa_next_free_sgpr 28
		.amdhsa_reserve_vcc 1
		.amdhsa_reserve_flat_scratch 0
		.amdhsa_float_round_mode_32 0
		.amdhsa_float_round_mode_16_64 0
		.amdhsa_float_denorm_mode_32 3
		.amdhsa_float_denorm_mode_16_64 3
		.amdhsa_dx10_clamp 1
		.amdhsa_ieee_mode 1
		.amdhsa_fp16_overflow 0
		.amdhsa_exception_fp_ieee_invalid_op 0
		.amdhsa_exception_fp_denorm_src 0
		.amdhsa_exception_fp_ieee_div_zero 0
		.amdhsa_exception_fp_ieee_overflow 0
		.amdhsa_exception_fp_ieee_underflow 0
		.amdhsa_exception_fp_ieee_inexact 0
		.amdhsa_exception_int_div_zero 0
	.end_amdhsa_kernel
	.text
.Lfunc_end0:
	.size	fft_rtc_fwd_len3888_factors_16_3_3_3_3_3_wgs_324_tpt_324_halfLds_half_op_CI_CI_unitstride_sbrr_R2C_dirReg, .Lfunc_end0-fft_rtc_fwd_len3888_factors_16_3_3_3_3_3_wgs_324_tpt_324_halfLds_half_op_CI_CI_unitstride_sbrr_R2C_dirReg
                                        ; -- End function
	.section	.AMDGPU.csdata,"",@progbits
; Kernel info:
; codeLenInByte = 10552
; NumSgprs: 32
; NumVgprs: 47
; ScratchSize: 0
; MemoryBound: 0
; FloatMode: 240
; IeeeMode: 1
; LDSByteSize: 0 bytes/workgroup (compile time only)
; SGPRBlocks: 3
; VGPRBlocks: 11
; NumSGPRsForWavesPerEU: 32
; NumVGPRsForWavesPerEU: 47
; Occupancy: 5
; WaveLimiterHint : 1
; COMPUTE_PGM_RSRC2:SCRATCH_EN: 0
; COMPUTE_PGM_RSRC2:USER_SGPR: 6
; COMPUTE_PGM_RSRC2:TRAP_HANDLER: 0
; COMPUTE_PGM_RSRC2:TGID_X_EN: 1
; COMPUTE_PGM_RSRC2:TGID_Y_EN: 0
; COMPUTE_PGM_RSRC2:TGID_Z_EN: 0
; COMPUTE_PGM_RSRC2:TIDIG_COMP_CNT: 0
	.type	__hip_cuid_5ea8ab3825b0d410,@object ; @__hip_cuid_5ea8ab3825b0d410
	.section	.bss,"aw",@nobits
	.globl	__hip_cuid_5ea8ab3825b0d410
__hip_cuid_5ea8ab3825b0d410:
	.byte	0                               ; 0x0
	.size	__hip_cuid_5ea8ab3825b0d410, 1

	.ident	"AMD clang version 19.0.0git (https://github.com/RadeonOpenCompute/llvm-project roc-6.4.0 25133 c7fe45cf4b819c5991fe208aaa96edf142730f1d)"
	.section	".note.GNU-stack","",@progbits
	.addrsig
	.addrsig_sym __hip_cuid_5ea8ab3825b0d410
	.amdgpu_metadata
---
amdhsa.kernels:
  - .args:
      - .actual_access:  read_only
        .address_space:  global
        .offset:         0
        .size:           8
        .value_kind:     global_buffer
      - .offset:         8
        .size:           8
        .value_kind:     by_value
      - .actual_access:  read_only
        .address_space:  global
        .offset:         16
        .size:           8
        .value_kind:     global_buffer
      - .actual_access:  read_only
        .address_space:  global
        .offset:         24
        .size:           8
        .value_kind:     global_buffer
      - .actual_access:  read_only
        .address_space:  global
        .offset:         32
        .size:           8
        .value_kind:     global_buffer
      - .offset:         40
        .size:           8
        .value_kind:     by_value
      - .actual_access:  read_only
        .address_space:  global
        .offset:         48
        .size:           8
        .value_kind:     global_buffer
      - .actual_access:  read_only
        .address_space:  global
        .offset:         56
        .size:           8
        .value_kind:     global_buffer
      - .offset:         64
        .size:           4
        .value_kind:     by_value
      - .actual_access:  read_only
        .address_space:  global
        .offset:         72
        .size:           8
        .value_kind:     global_buffer
      - .actual_access:  read_only
        .address_space:  global
        .offset:         80
        .size:           8
        .value_kind:     global_buffer
      - .actual_access:  read_only
        .address_space:  global
        .offset:         88
        .size:           8
        .value_kind:     global_buffer
      - .actual_access:  write_only
        .address_space:  global
        .offset:         96
        .size:           8
        .value_kind:     global_buffer
    .group_segment_fixed_size: 0
    .kernarg_segment_align: 8
    .kernarg_segment_size: 104
    .language:       OpenCL C
    .language_version:
      - 2
      - 0
    .max_flat_workgroup_size: 324
    .name:           fft_rtc_fwd_len3888_factors_16_3_3_3_3_3_wgs_324_tpt_324_halfLds_half_op_CI_CI_unitstride_sbrr_R2C_dirReg
    .private_segment_fixed_size: 0
    .sgpr_count:     32
    .sgpr_spill_count: 0
    .symbol:         fft_rtc_fwd_len3888_factors_16_3_3_3_3_3_wgs_324_tpt_324_halfLds_half_op_CI_CI_unitstride_sbrr_R2C_dirReg.kd
    .uniform_work_group_size: 1
    .uses_dynamic_stack: false
    .vgpr_count:     47
    .vgpr_spill_count: 0
    .wavefront_size: 64
amdhsa.target:   amdgcn-amd-amdhsa--gfx906
amdhsa.version:
  - 1
  - 2
...

	.end_amdgpu_metadata
